;; amdgpu-corpus repo=ROCm/rocBLAS kind=compiled arch=gfx1250 opt=O3
	.amdgcn_target "amdgcn-amd-amdhsa--gfx1250"
	.amdhsa_code_object_version 6
	.section	.text._ZL20rocblas_trmvn_kernelILi64ELi16ELb0ELb1EPKfPfS2_EviT3_lllT4_lllT5_li,"axG",@progbits,_ZL20rocblas_trmvn_kernelILi64ELi16ELb0ELb1EPKfPfS2_EviT3_lllT4_lllT5_li,comdat
	.globl	_ZL20rocblas_trmvn_kernelILi64ELi16ELb0ELb1EPKfPfS2_EviT3_lllT4_lllT5_li ; -- Begin function _ZL20rocblas_trmvn_kernelILi64ELi16ELb0ELb1EPKfPfS2_EviT3_lllT4_lllT5_li
	.p2align	8
	.type	_ZL20rocblas_trmvn_kernelILi64ELi16ELb0ELb1EPKfPfS2_EviT3_lllT4_lllT5_li,@function
_ZL20rocblas_trmvn_kernelILi64ELi16ELb0ELb1EPKfPfS2_EviT3_lllT4_lllT5_li: ; @_ZL20rocblas_trmvn_kernelILi64ELi16ELb0ELb1EPKfPfS2_EviT3_lllT4_lllT5_li
; %bb.0:
	s_load_b32 s3, s[0:1], 0x58
	s_bfe_u32 s2, ttmp6, 0x40014
	s_lshr_b32 s4, ttmp7, 16
	s_add_co_i32 s2, s2, 1
	s_bfe_u32 s6, ttmp6, 0x40008
	s_mul_i32 s5, s4, s2
	s_getreg_b32 s2, hwreg(HW_REG_IB_STS2, 6, 4)
	s_add_co_i32 s6, s6, s5
	s_cmp_eq_u32 s2, 0
	s_mov_b32 s25, 0
	s_cselect_b32 s24, s4, s6
	s_wait_kmcnt 0x0
	s_cmp_ge_u32 s24, s3
	s_cbranch_scc1 .LBB0_14
; %bb.1:
	s_clause 0x1
	s_load_b512 s[4:19], s[0:1], 0x8
	s_load_b32 s20, s[0:1], 0x6c
	s_bfe_u32 s21, ttmp6, 0x4000c
	v_and_b32_e32 v12, 0x3ff, v0
	s_add_co_i32 s21, s21, 1
	v_bfe_u32 v2, v0, 10, 10
	s_delay_alu instid0(VALU_DEP_1)
	v_dual_lshlrev_b32 v14, 2, v12 :: v_dual_lshlrev_b32 v15, 8, v2
	s_wait_kmcnt 0x0
	s_lshl_b64 s[26:27], s[14:15], 2
	s_and_b32 s15, s20, 0xffff
	s_and_b32 s14, ttmp6, 15
	s_mul_i32 s20, ttmp9, s21
	s_delay_alu instid0(SALU_CYCLE_1)
	s_add_co_i32 s14, s14, s20
	s_cmp_eq_u32 s2, 0
	s_load_b128 s[20:23], s[0:1], 0x48
	s_cselect_b32 s2, ttmp9, s14
	s_load_b32 s14, s[0:1], 0x0
	v_lshl_add_u32 v0, s2, 6, v12
	v_mov_b32_e32 v3, 0
	s_lshl_b64 s[28:29], s[6:7], 2
	s_wait_xcnt 0x0
	v_cmp_eq_u32_e64 s0, 0, v2
	s_add_nc_u64 s[6:7], s[12:13], s[26:27]
	v_ashrrev_i32_e32 v1, 31, v0
	v_mul_u64_e32 v[6:7], s[8:9], v[2:3]
	v_mul_u64_e32 v[8:9], s[16:17], v[2:3]
	v_mad_u32_u24 v3, v2, s15, v12
	s_lshl_b64 s[12:13], s[16:17], 6
	v_mul_u64_e32 v[4:5], s[16:17], v[0:1]
	v_lshlrev_b64_e32 v[10:11], 2, v[0:1]
	v_mul_u32_u24_e32 v1, s15, v2
	v_cmp_gt_u32_e64 s1, 64, v3
	v_add_nc_u32_e32 v3, v14, v15
	s_lshl_b64 s[10:11], s[10:11], 2
	s_lshl_b64 s[8:9], s[8:9], 6
	v_lshl_add_u32 v1, v1, 2, v14
	s_wait_kmcnt 0x0
	v_cmp_gt_i32_e32 vcc_lo, s14, v0
	s_and_b32 s15, s0, vcc_lo
	v_cmp_gt_i32_e64 s0, s14, v2
	v_lshl_add_u64 v[6:7], v[6:7], 2, s[28:29]
	v_lshl_add_u64 v[8:9], v[8:9], 2, s[6:7]
	s_delay_alu instid0(VALU_DEP_2) | instskip(SKIP_1) | instid1(VALU_DEP_2)
	v_add_nc_u64_e32 v[12:13], v[6:7], v[10:11]
	v_add_nc_u64_e32 v[6:7], s[20:21], v[10:11]
	v_add_nc_u64_e32 v[10:11], s[4:5], v[12:13]
	s_lshl_b64 s[4:5], s[18:19], 2
	s_branch .LBB0_3
.LBB0_2:                                ;   in Loop: Header=BB0_3 Depth=1
	s_wait_xcnt 0x0
	s_or_b32 exec_lo, exec_lo, s2
	s_add_co_i32 s24, s24, 0x10000
	s_delay_alu instid0(SALU_CYCLE_1)
	s_cmp_lt_u32 s24, s3
	s_cbranch_scc0 .LBB0_14
.LBB0_3:                                ; =>This Loop Header: Depth=1
                                        ;     Child Loop BB0_8 Depth 2
	v_mov_b32_e32 v16, 0
	s_and_saveexec_b32 s2, s15
	s_cbranch_execz .LBB0_5
; %bb.4:                                ;   in Loop: Header=BB0_3 Depth=1
	s_mul_u64 s[16:17], s[18:19], s[24:25]
	s_delay_alu instid0(SALU_CYCLE_1) | instskip(NEXT) | instid1(SALU_CYCLE_1)
	s_lshl_b64 s[16:17], s[16:17], 2
	s_add_nc_u64 s[16:17], s[6:7], s[16:17]
	s_delay_alu instid0(SALU_CYCLE_1)
	v_lshl_add_u64 v[12:13], v[4:5], 2, s[16:17]
	global_load_b32 v16, v[12:13], off
.LBB0_5:                                ;   in Loop: Header=BB0_3 Depth=1
	s_wait_xcnt 0x0
	s_or_b32 exec_lo, exec_lo, s2
	s_and_saveexec_b32 s16, s0
	s_cbranch_execz .LBB0_11
; %bb.6:                                ;   in Loop: Header=BB0_3 Depth=1
	v_mad_nc_u64_u32 v[12:13], s4, s24, v[8:9]
	v_mad_nc_u64_u32 v[14:15], s10, s24, v[10:11]
	v_mov_b32_e32 v17, v2
	s_mov_b32 s17, 0
	s_delay_alu instid0(VALU_DEP_3) | instskip(NEXT) | instid1(VALU_DEP_3)
	v_mad_u32 v13, s5, s24, v13
	v_mad_u32 v15, s11, s24, v15
	s_branch .LBB0_8
.LBB0_7:                                ;   in Loop: Header=BB0_8 Depth=2
	s_wait_xcnt 0x0
	s_or_b32 exec_lo, exec_lo, s20
	v_add_nc_u32_e32 v17, 16, v17
	s_delay_alu instid0(VALU_DEP_4) | instskip(NEXT) | instid1(VALU_DEP_4)
	v_add_nc_u64_e32 v[12:13], s[12:13], v[12:13]
	v_add_nc_u64_e32 v[14:15], s[8:9], v[14:15]
	s_delay_alu instid0(VALU_DEP_3) | instskip(SKIP_1) | instid1(SALU_CYCLE_1)
	v_cmp_le_i32_e64 s2, s14, v17
	s_or_b32 s17, s2, s17
	s_and_not1_b32 exec_lo, exec_lo, s17
	s_cbranch_execz .LBB0_10
.LBB0_8:                                ;   Parent Loop BB0_3 Depth=1
                                        ; =>  This Inner Loop Header: Depth=2
	s_mov_b32 s20, exec_lo
	v_cmpx_gt_i32_e64 v17, v0
	s_cbranch_execz .LBB0_7
; %bb.9:                                ;   in Loop: Header=BB0_8 Depth=2
	global_load_b32 v18, v[14:15], off
	global_load_b32 v19, v[12:13], off
	s_wait_loadcnt 0x0
	v_fmac_f32_e32 v16, v18, v19
	s_branch .LBB0_7
.LBB0_10:                               ;   in Loop: Header=BB0_3 Depth=1
	s_or_b32 exec_lo, exec_lo, s17
.LBB0_11:                               ;   in Loop: Header=BB0_3 Depth=1
	s_delay_alu instid0(SALU_CYCLE_1)
	s_or_b32 exec_lo, exec_lo, s16
	s_wait_loadcnt 0x0
	ds_store_b32 v3, v16
	s_wait_dscnt 0x0
	s_barrier_signal -1
	s_barrier_wait -1
	s_and_saveexec_b32 s2, s1
	s_cbranch_execz .LBB0_2
; %bb.12:                               ;   in Loop: Header=BB0_3 Depth=1
	ds_load_2addr_stride64_b32 v[12:13], v1 offset1:1
	ds_load_2addr_stride64_b32 v[14:15], v1 offset0:2 offset1:3
	ds_load_2addr_stride64_b32 v[16:17], v1 offset0:4 offset1:5
	;; [unrolled: 1-line block ×3, first 2 shown]
	s_wait_dscnt 0x3
	v_add_f32_e32 v12, v12, v13
	s_wait_dscnt 0x2
	s_delay_alu instid0(VALU_DEP_1) | instskip(NEXT) | instid1(VALU_DEP_1)
	v_add_f32_e32 v12, v14, v12
	v_add_f32_e32 v12, v15, v12
	s_wait_dscnt 0x1
	s_delay_alu instid0(VALU_DEP_1) | instskip(SKIP_3) | instid1(VALU_DEP_1)
	v_add_f32_e32 v14, v16, v12
	ds_load_2addr_stride64_b32 v[12:13], v1 offset0:8 offset1:9
	v_add_f32_e32 v14, v17, v14
	s_wait_dscnt 0x1
	v_add_f32_e32 v16, v18, v14
	ds_load_2addr_stride64_b32 v[14:15], v1 offset0:10 offset1:11
	v_add_f32_e32 v20, v19, v16
	ds_load_2addr_stride64_b32 v[16:17], v1 offset0:12 offset1:13
	ds_load_2addr_stride64_b32 v[18:19], v1 offset0:14 offset1:15
	s_wait_dscnt 0x3
	v_add_f32_e32 v12, v12, v20
	s_delay_alu instid0(VALU_DEP_1) | instskip(SKIP_1) | instid1(VALU_DEP_1)
	v_add_f32_e32 v12, v13, v12
	s_wait_dscnt 0x2
	v_add_f32_e32 v12, v14, v12
	s_delay_alu instid0(VALU_DEP_1) | instskip(SKIP_1) | instid1(VALU_DEP_1)
	v_add_f32_e32 v12, v15, v12
	;; [unrolled: 4-line block ×3, first 2 shown]
	s_wait_dscnt 0x0
	v_add_f32_e32 v12, v18, v12
	s_delay_alu instid0(VALU_DEP_1)
	v_add_f32_e32 v12, v19, v12
	ds_store_b32 v1, v12
	s_and_b32 exec_lo, exec_lo, vcc_lo
	s_cbranch_execz .LBB0_2
; %bb.13:                               ;   in Loop: Header=BB0_3 Depth=1
	s_mul_u64 s[16:17], s[22:23], s[24:25]
	s_delay_alu instid0(SALU_CYCLE_1)
	v_lshl_add_u64 v[14:15], s[16:17], 2, v[6:7]
	global_store_b32 v[14:15], v12, off
	s_branch .LBB0_2
.LBB0_14:
	s_endpgm
	.section	.rodata,"a",@progbits
	.p2align	6, 0x0
	.amdhsa_kernel _ZL20rocblas_trmvn_kernelILi64ELi16ELb0ELb1EPKfPfS2_EviT3_lllT4_lllT5_li
		.amdhsa_group_segment_fixed_size 4096
		.amdhsa_private_segment_fixed_size 0
		.amdhsa_kernarg_size 352
		.amdhsa_user_sgpr_count 2
		.amdhsa_user_sgpr_dispatch_ptr 0
		.amdhsa_user_sgpr_queue_ptr 0
		.amdhsa_user_sgpr_kernarg_segment_ptr 1
		.amdhsa_user_sgpr_dispatch_id 0
		.amdhsa_user_sgpr_kernarg_preload_length 0
		.amdhsa_user_sgpr_kernarg_preload_offset 0
		.amdhsa_user_sgpr_private_segment_size 0
		.amdhsa_wavefront_size32 1
		.amdhsa_uses_dynamic_stack 0
		.amdhsa_enable_private_segment 0
		.amdhsa_system_sgpr_workgroup_id_x 1
		.amdhsa_system_sgpr_workgroup_id_y 0
		.amdhsa_system_sgpr_workgroup_id_z 1
		.amdhsa_system_sgpr_workgroup_info 0
		.amdhsa_system_vgpr_workitem_id 1
		.amdhsa_next_free_vgpr 21
		.amdhsa_next_free_sgpr 30
		.amdhsa_named_barrier_count 0
		.amdhsa_reserve_vcc 1
		.amdhsa_float_round_mode_32 0
		.amdhsa_float_round_mode_16_64 0
		.amdhsa_float_denorm_mode_32 3
		.amdhsa_float_denorm_mode_16_64 3
		.amdhsa_fp16_overflow 0
		.amdhsa_memory_ordered 1
		.amdhsa_forward_progress 1
		.amdhsa_inst_pref_size 7
		.amdhsa_round_robin_scheduling 0
		.amdhsa_exception_fp_ieee_invalid_op 0
		.amdhsa_exception_fp_denorm_src 0
		.amdhsa_exception_fp_ieee_div_zero 0
		.amdhsa_exception_fp_ieee_overflow 0
		.amdhsa_exception_fp_ieee_underflow 0
		.amdhsa_exception_fp_ieee_inexact 0
		.amdhsa_exception_int_div_zero 0
	.end_amdhsa_kernel
	.section	.text._ZL20rocblas_trmvn_kernelILi64ELi16ELb0ELb1EPKfPfS2_EviT3_lllT4_lllT5_li,"axG",@progbits,_ZL20rocblas_trmvn_kernelILi64ELi16ELb0ELb1EPKfPfS2_EviT3_lllT4_lllT5_li,comdat
.Lfunc_end0:
	.size	_ZL20rocblas_trmvn_kernelILi64ELi16ELb0ELb1EPKfPfS2_EviT3_lllT4_lllT5_li, .Lfunc_end0-_ZL20rocblas_trmvn_kernelILi64ELi16ELb0ELb1EPKfPfS2_EviT3_lllT4_lllT5_li
                                        ; -- End function
	.set _ZL20rocblas_trmvn_kernelILi64ELi16ELb0ELb1EPKfPfS2_EviT3_lllT4_lllT5_li.num_vgpr, 21
	.set _ZL20rocblas_trmvn_kernelILi64ELi16ELb0ELb1EPKfPfS2_EviT3_lllT4_lllT5_li.num_agpr, 0
	.set _ZL20rocblas_trmvn_kernelILi64ELi16ELb0ELb1EPKfPfS2_EviT3_lllT4_lllT5_li.numbered_sgpr, 30
	.set _ZL20rocblas_trmvn_kernelILi64ELi16ELb0ELb1EPKfPfS2_EviT3_lllT4_lllT5_li.num_named_barrier, 0
	.set _ZL20rocblas_trmvn_kernelILi64ELi16ELb0ELb1EPKfPfS2_EviT3_lllT4_lllT5_li.private_seg_size, 0
	.set _ZL20rocblas_trmvn_kernelILi64ELi16ELb0ELb1EPKfPfS2_EviT3_lllT4_lllT5_li.uses_vcc, 1
	.set _ZL20rocblas_trmvn_kernelILi64ELi16ELb0ELb1EPKfPfS2_EviT3_lllT4_lllT5_li.uses_flat_scratch, 0
	.set _ZL20rocblas_trmvn_kernelILi64ELi16ELb0ELb1EPKfPfS2_EviT3_lllT4_lllT5_li.has_dyn_sized_stack, 0
	.set _ZL20rocblas_trmvn_kernelILi64ELi16ELb0ELb1EPKfPfS2_EviT3_lllT4_lllT5_li.has_recursion, 0
	.set _ZL20rocblas_trmvn_kernelILi64ELi16ELb0ELb1EPKfPfS2_EviT3_lllT4_lllT5_li.has_indirect_call, 0
	.section	.AMDGPU.csdata,"",@progbits
; Kernel info:
; codeLenInByte = 864
; TotalNumSgprs: 32
; NumVgprs: 21
; ScratchSize: 0
; MemoryBound: 0
; FloatMode: 240
; IeeeMode: 1
; LDSByteSize: 4096 bytes/workgroup (compile time only)
; SGPRBlocks: 0
; VGPRBlocks: 1
; NumSGPRsForWavesPerEU: 32
; NumVGPRsForWavesPerEU: 21
; NamedBarCnt: 0
; Occupancy: 16
; WaveLimiterHint : 0
; COMPUTE_PGM_RSRC2:SCRATCH_EN: 0
; COMPUTE_PGM_RSRC2:USER_SGPR: 2
; COMPUTE_PGM_RSRC2:TRAP_HANDLER: 0
; COMPUTE_PGM_RSRC2:TGID_X_EN: 1
; COMPUTE_PGM_RSRC2:TGID_Y_EN: 0
; COMPUTE_PGM_RSRC2:TGID_Z_EN: 1
; COMPUTE_PGM_RSRC2:TIDIG_COMP_CNT: 1
	.section	.text._ZL20rocblas_trmvt_kernelILi512ELb0ELb0ELb1EPKfPfS2_EviT3_lllT4_lllT5_li,"axG",@progbits,_ZL20rocblas_trmvt_kernelILi512ELb0ELb0ELb1EPKfPfS2_EviT3_lllT4_lllT5_li,comdat
	.globl	_ZL20rocblas_trmvt_kernelILi512ELb0ELb0ELb1EPKfPfS2_EviT3_lllT4_lllT5_li ; -- Begin function _ZL20rocblas_trmvt_kernelILi512ELb0ELb0ELb1EPKfPfS2_EviT3_lllT4_lllT5_li
	.p2align	8
	.type	_ZL20rocblas_trmvt_kernelILi512ELb0ELb0ELb1EPKfPfS2_EviT3_lllT4_lllT5_li,@function
_ZL20rocblas_trmvt_kernelILi512ELb0ELb0ELb1EPKfPfS2_EviT3_lllT4_lllT5_li: ; @_ZL20rocblas_trmvt_kernelILi512ELb0ELb0ELb1EPKfPfS2_EviT3_lllT4_lllT5_li
; %bb.0:
	s_load_b32 s26, s[0:1], 0x58
	s_bfe_u32 s2, ttmp6, 0x40014
	s_lshr_b32 s3, ttmp7, 16
	s_add_co_i32 s2, s2, 1
	s_bfe_u32 s5, ttmp6, 0x40008
	s_mul_i32 s4, s3, s2
	s_getreg_b32 s2, hwreg(HW_REG_IB_STS2, 6, 4)
	s_add_co_i32 s5, s5, s4
	s_cmp_eq_u32 s2, 0
	s_mov_b32 s25, 0
	s_cselect_b32 s24, s3, s5
	s_wait_kmcnt 0x0
	s_cmp_ge_u32 s24, s26
	s_cbranch_scc1 .LBB1_21
; %bb.1:
	s_clause 0x2
	s_load_b512 s[4:19], s[0:1], 0x8
	s_load_b32 s27, s[0:1], 0x0
	s_load_b128 s[20:23], s[0:1], 0x48
	v_dual_mov_b32 v3, 0 :: v_dual_bitop2_b32 v2, 31, v0 bitop3:0x40
	s_wait_xcnt 0x0
	s_bfe_u32 s0, ttmp6, 0x4000c
	v_mbcnt_lo_u32_b32 v4, -1, 0
	s_add_co_i32 s1, s0, 1
	v_dual_mov_b32 v1, v3 :: v_dual_lshlrev_b32 v12, 2, v2
	s_and_b32 s3, ttmp6, 15
	s_mul_i32 s28, ttmp9, s1
	v_cmp_gt_u32_e64 s1, 24, v4
	s_add_co_i32 s3, s3, s28
	v_lshl_or_b32 v13, v4, 2, 64
	v_cmp_gt_u32_e64 s0, 32, v0
	v_cmp_eq_u32_e32 vcc_lo, 0, v0
	v_cndmask_b32_e64 v5, 0, 8, s1
	s_wait_kmcnt 0x0
	v_mul_u64_e32 v[6:7], s[16:17], v[0:1]
	s_lshl_b64 s[28:29], s[14:15], 2
	s_cmp_eq_u32 s2, 0
	v_cmp_gt_u32_e64 s2, 28, v4
	v_cmp_gt_i32_e64 s1, s27, v0
	s_cselect_b32 s14, ttmp9, s3
	s_lshl_b64 s[6:7], s[6:7], 2
	s_ashr_i32 s15, s14, 31
	v_cndmask_b32_e64 v9, 0, 4, s2
	v_cmp_gt_u32_e64 s2, 30, v4
	v_cndmask_b32_e64 v8, 0, v0, s1
	s_mul_u64 s[8:9], s[8:9], s[14:15]
	v_add_lshl_u32 v1, v5, v4, 2
	s_lshl_b64 s[8:9], s[8:9], 2
	v_cndmask_b32_e64 v10, 0, 2, s2
	v_cmp_ne_u32_e64 s2, 31, v4
	v_lshrrev_b32_e32 v5, 3, v0
	s_add_nc_u64 s[6:7], s[8:9], s[6:7]
	s_add_nc_u64 s[12:13], s[12:13], s[28:29]
	s_add_nc_u64 s[4:5], s[4:5], s[6:7]
	v_add_co_ci_u32_e64 v11, null, 0, v4, s2
	v_cmp_eq_u32_e64 s2, 0, v2
	v_lshlrev_b32_e32 v2, 2, v8
	v_add_lshl_u32 v14, v9, v4, 2
	v_add_lshl_u32 v15, v10, v4, 2
	v_dual_lshlrev_b32 v16, 2, v11 :: v_dual_bitop2_b32 v17, 60, v5 bitop3:0x40
	s_delay_alu instid0(VALU_DEP_4)
	v_add_nc_u64_e32 v[4:5], s[4:5], v[2:3]
	v_cmp_gt_u32_e64 s3, 16, v0
	s_mul_u64 s[28:29], s[16:17], s[14:15]
	s_lshl_b64 s[8:9], s[14:15], 2
	v_lshl_add_u64 v[6:7], v[6:7], 2, s[12:13]
	s_add_nc_u64 s[6:7], s[20:21], s[8:9]
	s_lshl_b64 s[8:9], s[10:11], 2
	s_lshl_b64 s[10:11], s[18:19], 2
	;; [unrolled: 1-line block ×4, first 2 shown]
	s_branch .LBB1_3
.LBB1_2:                                ;   in Loop: Header=BB1_3 Depth=1
	s_wait_xcnt 0x0
	s_or_b32 exec_lo, exec_lo, s4
	s_add_co_i32 s24, s24, 0x10000
	s_delay_alu instid0(SALU_CYCLE_1)
	s_cmp_lt_u32 s24, s26
	s_cbranch_scc0 .LBB1_21
.LBB1_3:                                ; =>This Loop Header: Depth=1
                                        ;     Child Loop BB1_15 Depth 2
	s_wait_dscnt 0x0
	v_mov_b32_e32 v2, 0
	s_and_saveexec_b32 s4, vcc_lo
	s_cbranch_execnz .LBB1_12
; %bb.4:                                ;   in Loop: Header=BB1_3 Depth=1
	s_or_b32 exec_lo, exec_lo, s4
	s_and_saveexec_b32 s5, s1
	s_cbranch_execnz .LBB1_13
.LBB1_5:                                ;   in Loop: Header=BB1_3 Depth=1
	s_or_b32 exec_lo, exec_lo, s5
	s_and_saveexec_b32 s4, s0
.LBB1_6:                                ;   in Loop: Header=BB1_3 Depth=1
	ds_store_b32 v12, v3
.LBB1_7:                                ;   in Loop: Header=BB1_3 Depth=1
	s_or_b32 exec_lo, exec_lo, s4
	ds_bpermute_b32 v8, v13, v2
	s_wait_dscnt 0x0
	s_barrier_signal -1
	s_barrier_wait -1
	v_add_f32_e32 v2, v2, v8
	ds_bpermute_b32 v8, v1, v2
	s_wait_dscnt 0x0
	v_add_f32_e32 v2, v2, v8
	ds_bpermute_b32 v8, v14, v2
	s_wait_dscnt 0x0
	;; [unrolled: 3-line block ×3, first 2 shown]
	v_add_f32_e32 v2, v2, v8
	ds_bpermute_b32 v8, v16, v2
	s_and_saveexec_b32 s4, s2
	s_cbranch_execz .LBB1_9
; %bb.8:                                ;   in Loop: Header=BB1_3 Depth=1
	s_wait_dscnt 0x0
	v_add_f32_e32 v2, v2, v8
	ds_store_b32 v17, v2
.LBB1_9:                                ;   in Loop: Header=BB1_3 Depth=1
	s_or_b32 exec_lo, exec_lo, s4
	v_mov_b32_e32 v2, 0
	s_wait_dscnt 0x0
	s_barrier_signal -1
	s_barrier_wait -1
	s_and_saveexec_b32 s4, s3
	s_cbranch_execnz .LBB1_17
; %bb.10:                               ;   in Loop: Header=BB1_3 Depth=1
	s_or_b32 exec_lo, exec_lo, s4
	s_and_saveexec_b32 s4, s0
	s_cbranch_execnz .LBB1_18
.LBB1_11:                               ;   in Loop: Header=BB1_3 Depth=1
	s_or_b32 exec_lo, exec_lo, s4
	s_and_saveexec_b32 s4, vcc_lo
	s_cbranch_execz .LBB1_2
	s_branch .LBB1_19
.LBB1_12:                               ;   in Loop: Header=BB1_3 Depth=1
	s_mul_u64 s[28:29], s[18:19], s[24:25]
	s_delay_alu instid0(SALU_CYCLE_1) | instskip(NEXT) | instid1(SALU_CYCLE_1)
	s_lshl_b64 s[28:29], s[28:29], 2
	s_add_nc_u64 s[28:29], s[12:13], s[28:29]
	s_delay_alu instid0(SALU_CYCLE_1)
	s_add_nc_u64 s[28:29], s[28:29], s[20:21]
	global_load_b32 v2, v3, s[28:29]
	s_wait_loadcnt 0x0
	v_add_f32_e32 v2, 0, v2
	s_wait_xcnt 0x0
	s_or_b32 exec_lo, exec_lo, s4
	s_and_saveexec_b32 s5, s1
	s_cbranch_execz .LBB1_5
.LBB1_13:                               ;   in Loop: Header=BB1_3 Depth=1
	v_mad_nc_u64_u32 v[8:9], s8, s24, v[4:5]
	v_mad_nc_u64_u32 v[10:11], s10, s24, v[6:7]
	v_mov_b32_e32 v18, v0
	s_mov_b32 s15, 0
	s_delay_alu instid0(VALU_DEP_3) | instskip(NEXT) | instid1(VALU_DEP_3)
	v_mad_u32 v9, s9, s24, v9
	v_mad_u32 v11, s11, s24, v11
	s_branch .LBB1_15
.LBB1_14:                               ;   in Loop: Header=BB1_15 Depth=2
	s_wait_xcnt 0x0
	s_or_b32 exec_lo, exec_lo, s28
	v_add_nc_u32_e32 v18, 0x200, v18
	s_delay_alu instid0(VALU_DEP_4) | instskip(NEXT) | instid1(VALU_DEP_4)
	v_add_nc_u64_e32 v[8:9], 0x800, v[8:9]
	v_add_nc_u64_e32 v[10:11], s[16:17], v[10:11]
	s_delay_alu instid0(VALU_DEP_3) | instskip(SKIP_1) | instid1(SALU_CYCLE_1)
	v_cmp_le_i32_e64 s4, s27, v18
	s_or_b32 s15, s4, s15
	s_and_not1_b32 exec_lo, exec_lo, s15
	s_cbranch_execz .LBB1_20
.LBB1_15:                               ;   Parent Loop BB1_3 Depth=1
                                        ; =>  This Inner Loop Header: Depth=2
	s_mov_b32 s28, exec_lo
	v_cmpx_gt_i32_e64 s14, v18
	s_cbranch_execz .LBB1_14
; %bb.16:                               ;   in Loop: Header=BB1_15 Depth=2
	global_load_b32 v19, v[8:9], off
	global_load_b32 v20, v[10:11], off
	s_wait_loadcnt 0x0
	v_fmac_f32_e32 v2, v19, v20
	s_branch .LBB1_14
.LBB1_17:                               ;   in Loop: Header=BB1_3 Depth=1
	ds_load_b32 v2, v12
	s_or_b32 exec_lo, exec_lo, s4
	s_and_saveexec_b32 s4, s0
	s_cbranch_execz .LBB1_11
.LBB1_18:                               ;   in Loop: Header=BB1_3 Depth=1
	s_wait_dscnt 0x0
	ds_bpermute_b32 v8, v1, v2
	s_wait_dscnt 0x0
	v_add_f32_e32 v2, v2, v8
	ds_bpermute_b32 v8, v14, v2
	s_wait_dscnt 0x0
	v_add_f32_e32 v2, v2, v8
	ds_bpermute_b32 v8, v15, v2
	s_wait_dscnt 0x0
	v_add_f32_e32 v2, v2, v8
	ds_bpermute_b32 v8, v16, v2
	s_wait_dscnt 0x0
	v_add_f32_e32 v2, v2, v8
	s_or_b32 exec_lo, exec_lo, s4
	s_and_saveexec_b32 s4, vcc_lo
	s_cbranch_execz .LBB1_2
.LBB1_19:                               ;   in Loop: Header=BB1_3 Depth=1
	s_mul_u64 s[28:29], s[22:23], s[24:25]
	s_delay_alu instid0(SALU_CYCLE_1) | instskip(NEXT) | instid1(SALU_CYCLE_1)
	s_lshl_b64 s[28:29], s[28:29], 2
	s_add_nc_u64 s[28:29], s[6:7], s[28:29]
	s_wait_dscnt 0x0
	global_store_b32 v3, v2, s[28:29]
	s_branch .LBB1_2
.LBB1_20:                               ;   in Loop: Header=BB1_3 Depth=1
	s_or_b32 exec_lo, exec_lo, s15
	s_delay_alu instid0(SALU_CYCLE_1)
	s_or_b32 exec_lo, exec_lo, s5
	s_and_saveexec_b32 s4, s0
	s_cbranch_execnz .LBB1_6
	s_branch .LBB1_7
.LBB1_21:
	s_endpgm
	.section	.rodata,"a",@progbits
	.p2align	6, 0x0
	.amdhsa_kernel _ZL20rocblas_trmvt_kernelILi512ELb0ELb0ELb1EPKfPfS2_EviT3_lllT4_lllT5_li
		.amdhsa_group_segment_fixed_size 128
		.amdhsa_private_segment_fixed_size 0
		.amdhsa_kernarg_size 92
		.amdhsa_user_sgpr_count 2
		.amdhsa_user_sgpr_dispatch_ptr 0
		.amdhsa_user_sgpr_queue_ptr 0
		.amdhsa_user_sgpr_kernarg_segment_ptr 1
		.amdhsa_user_sgpr_dispatch_id 0
		.amdhsa_user_sgpr_kernarg_preload_length 0
		.amdhsa_user_sgpr_kernarg_preload_offset 0
		.amdhsa_user_sgpr_private_segment_size 0
		.amdhsa_wavefront_size32 1
		.amdhsa_uses_dynamic_stack 0
		.amdhsa_enable_private_segment 0
		.amdhsa_system_sgpr_workgroup_id_x 1
		.amdhsa_system_sgpr_workgroup_id_y 0
		.amdhsa_system_sgpr_workgroup_id_z 1
		.amdhsa_system_sgpr_workgroup_info 0
		.amdhsa_system_vgpr_workitem_id 0
		.amdhsa_next_free_vgpr 21
		.amdhsa_next_free_sgpr 30
		.amdhsa_named_barrier_count 0
		.amdhsa_reserve_vcc 1
		.amdhsa_float_round_mode_32 0
		.amdhsa_float_round_mode_16_64 0
		.amdhsa_float_denorm_mode_32 3
		.amdhsa_float_denorm_mode_16_64 3
		.amdhsa_fp16_overflow 0
		.amdhsa_memory_ordered 1
		.amdhsa_forward_progress 1
		.amdhsa_inst_pref_size 8
		.amdhsa_round_robin_scheduling 0
		.amdhsa_exception_fp_ieee_invalid_op 0
		.amdhsa_exception_fp_denorm_src 0
		.amdhsa_exception_fp_ieee_div_zero 0
		.amdhsa_exception_fp_ieee_overflow 0
		.amdhsa_exception_fp_ieee_underflow 0
		.amdhsa_exception_fp_ieee_inexact 0
		.amdhsa_exception_int_div_zero 0
	.end_amdhsa_kernel
	.section	.text._ZL20rocblas_trmvt_kernelILi512ELb0ELb0ELb1EPKfPfS2_EviT3_lllT4_lllT5_li,"axG",@progbits,_ZL20rocblas_trmvt_kernelILi512ELb0ELb0ELb1EPKfPfS2_EviT3_lllT4_lllT5_li,comdat
.Lfunc_end1:
	.size	_ZL20rocblas_trmvt_kernelILi512ELb0ELb0ELb1EPKfPfS2_EviT3_lllT4_lllT5_li, .Lfunc_end1-_ZL20rocblas_trmvt_kernelILi512ELb0ELb0ELb1EPKfPfS2_EviT3_lllT4_lllT5_li
                                        ; -- End function
	.set _ZL20rocblas_trmvt_kernelILi512ELb0ELb0ELb1EPKfPfS2_EviT3_lllT4_lllT5_li.num_vgpr, 21
	.set _ZL20rocblas_trmvt_kernelILi512ELb0ELb0ELb1EPKfPfS2_EviT3_lllT4_lllT5_li.num_agpr, 0
	.set _ZL20rocblas_trmvt_kernelILi512ELb0ELb0ELb1EPKfPfS2_EviT3_lllT4_lllT5_li.numbered_sgpr, 30
	.set _ZL20rocblas_trmvt_kernelILi512ELb0ELb0ELb1EPKfPfS2_EviT3_lllT4_lllT5_li.num_named_barrier, 0
	.set _ZL20rocblas_trmvt_kernelILi512ELb0ELb0ELb1EPKfPfS2_EviT3_lllT4_lllT5_li.private_seg_size, 0
	.set _ZL20rocblas_trmvt_kernelILi512ELb0ELb0ELb1EPKfPfS2_EviT3_lllT4_lllT5_li.uses_vcc, 1
	.set _ZL20rocblas_trmvt_kernelILi512ELb0ELb0ELb1EPKfPfS2_EviT3_lllT4_lllT5_li.uses_flat_scratch, 0
	.set _ZL20rocblas_trmvt_kernelILi512ELb0ELb0ELb1EPKfPfS2_EviT3_lllT4_lllT5_li.has_dyn_sized_stack, 0
	.set _ZL20rocblas_trmvt_kernelILi512ELb0ELb0ELb1EPKfPfS2_EviT3_lllT4_lllT5_li.has_recursion, 0
	.set _ZL20rocblas_trmvt_kernelILi512ELb0ELb0ELb1EPKfPfS2_EviT3_lllT4_lllT5_li.has_indirect_call, 0
	.section	.AMDGPU.csdata,"",@progbits
; Kernel info:
; codeLenInByte = 1024
; TotalNumSgprs: 32
; NumVgprs: 21
; ScratchSize: 0
; MemoryBound: 0
; FloatMode: 240
; IeeeMode: 1
; LDSByteSize: 128 bytes/workgroup (compile time only)
; SGPRBlocks: 0
; VGPRBlocks: 1
; NumSGPRsForWavesPerEU: 32
; NumVGPRsForWavesPerEU: 21
; NamedBarCnt: 0
; Occupancy: 16
; WaveLimiterHint : 0
; COMPUTE_PGM_RSRC2:SCRATCH_EN: 0
; COMPUTE_PGM_RSRC2:USER_SGPR: 2
; COMPUTE_PGM_RSRC2:TRAP_HANDLER: 0
; COMPUTE_PGM_RSRC2:TGID_X_EN: 1
; COMPUTE_PGM_RSRC2:TGID_Y_EN: 0
; COMPUTE_PGM_RSRC2:TGID_Z_EN: 1
; COMPUTE_PGM_RSRC2:TIDIG_COMP_CNT: 0
	.section	.text._ZL20rocblas_trmvt_kernelILi512ELb0ELb1ELb1EPKfPfS2_EviT3_lllT4_lllT5_li,"axG",@progbits,_ZL20rocblas_trmvt_kernelILi512ELb0ELb1ELb1EPKfPfS2_EviT3_lllT4_lllT5_li,comdat
	.globl	_ZL20rocblas_trmvt_kernelILi512ELb0ELb1ELb1EPKfPfS2_EviT3_lllT4_lllT5_li ; -- Begin function _ZL20rocblas_trmvt_kernelILi512ELb0ELb1ELb1EPKfPfS2_EviT3_lllT4_lllT5_li
	.p2align	8
	.type	_ZL20rocblas_trmvt_kernelILi512ELb0ELb1ELb1EPKfPfS2_EviT3_lllT4_lllT5_li,@function
_ZL20rocblas_trmvt_kernelILi512ELb0ELb1ELb1EPKfPfS2_EviT3_lllT4_lllT5_li: ; @_ZL20rocblas_trmvt_kernelILi512ELb0ELb1ELb1EPKfPfS2_EviT3_lllT4_lllT5_li
; %bb.0:
	s_load_b32 s26, s[0:1], 0x58
	s_bfe_u32 s2, ttmp6, 0x40014
	s_lshr_b32 s3, ttmp7, 16
	s_add_co_i32 s2, s2, 1
	s_bfe_u32 s5, ttmp6, 0x40008
	s_mul_i32 s4, s3, s2
	s_getreg_b32 s2, hwreg(HW_REG_IB_STS2, 6, 4)
	s_add_co_i32 s5, s5, s4
	s_cmp_eq_u32 s2, 0
	s_mov_b32 s25, 0
	s_cselect_b32 s24, s3, s5
	s_wait_kmcnt 0x0
	s_cmp_ge_u32 s24, s26
	s_cbranch_scc1 .LBB2_21
; %bb.1:
	s_clause 0x2
	s_load_b512 s[4:19], s[0:1], 0x8
	s_load_b32 s27, s[0:1], 0x0
	s_load_b128 s[20:23], s[0:1], 0x48
	v_dual_mov_b32 v3, 0 :: v_dual_bitop2_b32 v2, 31, v0 bitop3:0x40
	s_wait_xcnt 0x0
	s_bfe_u32 s0, ttmp6, 0x4000c
	v_mbcnt_lo_u32_b32 v4, -1, 0
	s_add_co_i32 s1, s0, 1
	v_dual_mov_b32 v1, v3 :: v_dual_lshlrev_b32 v12, 2, v2
	s_and_b32 s3, ttmp6, 15
	s_mul_i32 s28, ttmp9, s1
	v_cmp_gt_u32_e64 s1, 24, v4
	s_add_co_i32 s3, s3, s28
	v_lshl_or_b32 v13, v4, 2, 64
	v_cmp_gt_u32_e64 s0, 32, v0
	v_cmp_eq_u32_e32 vcc_lo, 0, v0
	v_cndmask_b32_e64 v5, 0, 8, s1
	s_wait_kmcnt 0x0
	v_mul_u64_e32 v[6:7], s[16:17], v[0:1]
	s_lshl_b64 s[28:29], s[14:15], 2
	s_cmp_eq_u32 s2, 0
	v_cmp_gt_u32_e64 s2, 28, v4
	v_cmp_gt_i32_e64 s1, s27, v0
	s_cselect_b32 s14, ttmp9, s3
	s_lshl_b64 s[6:7], s[6:7], 2
	s_ashr_i32 s15, s14, 31
	v_cndmask_b32_e64 v9, 0, 4, s2
	v_cmp_gt_u32_e64 s2, 30, v4
	v_cndmask_b32_e64 v8, 0, v0, s1
	s_mul_u64 s[8:9], s[8:9], s[14:15]
	v_add_lshl_u32 v1, v5, v4, 2
	s_lshl_b64 s[8:9], s[8:9], 2
	v_cndmask_b32_e64 v10, 0, 2, s2
	v_cmp_ne_u32_e64 s2, 31, v4
	v_lshrrev_b32_e32 v5, 3, v0
	s_add_nc_u64 s[6:7], s[8:9], s[6:7]
	s_add_nc_u64 s[12:13], s[12:13], s[28:29]
	;; [unrolled: 1-line block ×3, first 2 shown]
	v_add_co_ci_u32_e64 v11, null, 0, v4, s2
	v_cmp_eq_u32_e64 s2, 0, v2
	v_lshlrev_b32_e32 v2, 2, v8
	v_add_lshl_u32 v14, v9, v4, 2
	v_add_lshl_u32 v15, v10, v4, 2
	v_dual_lshlrev_b32 v16, 2, v11 :: v_dual_bitop2_b32 v17, 60, v5 bitop3:0x40
	s_delay_alu instid0(VALU_DEP_4)
	v_add_nc_u64_e32 v[4:5], s[4:5], v[2:3]
	v_cmp_gt_u32_e64 s3, 16, v0
	s_mul_u64 s[28:29], s[16:17], s[14:15]
	s_lshl_b64 s[8:9], s[14:15], 2
	v_lshl_add_u64 v[6:7], v[6:7], 2, s[12:13]
	s_add_nc_u64 s[6:7], s[20:21], s[8:9]
	s_lshl_b64 s[8:9], s[10:11], 2
	s_lshl_b64 s[10:11], s[18:19], 2
	;; [unrolled: 1-line block ×4, first 2 shown]
	s_branch .LBB2_3
.LBB2_2:                                ;   in Loop: Header=BB2_3 Depth=1
	s_wait_xcnt 0x0
	s_or_b32 exec_lo, exec_lo, s4
	s_add_co_i32 s24, s24, 0x10000
	s_delay_alu instid0(SALU_CYCLE_1)
	s_cmp_lt_u32 s24, s26
	s_cbranch_scc0 .LBB2_21
.LBB2_3:                                ; =>This Loop Header: Depth=1
                                        ;     Child Loop BB2_15 Depth 2
	s_wait_dscnt 0x0
	v_mov_b32_e32 v2, 0
	s_and_saveexec_b32 s4, vcc_lo
	s_cbranch_execnz .LBB2_12
; %bb.4:                                ;   in Loop: Header=BB2_3 Depth=1
	s_or_b32 exec_lo, exec_lo, s4
	s_and_saveexec_b32 s5, s1
	s_cbranch_execnz .LBB2_13
.LBB2_5:                                ;   in Loop: Header=BB2_3 Depth=1
	s_or_b32 exec_lo, exec_lo, s5
	s_and_saveexec_b32 s4, s0
.LBB2_6:                                ;   in Loop: Header=BB2_3 Depth=1
	ds_store_b32 v12, v3
.LBB2_7:                                ;   in Loop: Header=BB2_3 Depth=1
	s_or_b32 exec_lo, exec_lo, s4
	ds_bpermute_b32 v8, v13, v2
	s_wait_dscnt 0x0
	s_barrier_signal -1
	s_barrier_wait -1
	v_add_f32_e32 v2, v2, v8
	ds_bpermute_b32 v8, v1, v2
	s_wait_dscnt 0x0
	v_add_f32_e32 v2, v2, v8
	ds_bpermute_b32 v8, v14, v2
	s_wait_dscnt 0x0
	;; [unrolled: 3-line block ×3, first 2 shown]
	v_add_f32_e32 v2, v2, v8
	ds_bpermute_b32 v8, v16, v2
	s_and_saveexec_b32 s4, s2
	s_cbranch_execz .LBB2_9
; %bb.8:                                ;   in Loop: Header=BB2_3 Depth=1
	s_wait_dscnt 0x0
	v_add_f32_e32 v2, v2, v8
	ds_store_b32 v17, v2
.LBB2_9:                                ;   in Loop: Header=BB2_3 Depth=1
	s_or_b32 exec_lo, exec_lo, s4
	v_mov_b32_e32 v2, 0
	s_wait_dscnt 0x0
	s_barrier_signal -1
	s_barrier_wait -1
	s_and_saveexec_b32 s4, s3
	s_cbranch_execnz .LBB2_17
; %bb.10:                               ;   in Loop: Header=BB2_3 Depth=1
	s_or_b32 exec_lo, exec_lo, s4
	s_and_saveexec_b32 s4, s0
	s_cbranch_execnz .LBB2_18
.LBB2_11:                               ;   in Loop: Header=BB2_3 Depth=1
	s_or_b32 exec_lo, exec_lo, s4
	s_and_saveexec_b32 s4, vcc_lo
	s_cbranch_execz .LBB2_2
	s_branch .LBB2_19
.LBB2_12:                               ;   in Loop: Header=BB2_3 Depth=1
	s_mul_u64 s[28:29], s[18:19], s[24:25]
	s_delay_alu instid0(SALU_CYCLE_1) | instskip(NEXT) | instid1(SALU_CYCLE_1)
	s_lshl_b64 s[28:29], s[28:29], 2
	s_add_nc_u64 s[28:29], s[12:13], s[28:29]
	s_delay_alu instid0(SALU_CYCLE_1)
	s_add_nc_u64 s[28:29], s[28:29], s[20:21]
	global_load_b32 v2, v3, s[28:29]
	s_wait_loadcnt 0x0
	v_add_f32_e32 v2, 0, v2
	s_wait_xcnt 0x0
	s_or_b32 exec_lo, exec_lo, s4
	s_and_saveexec_b32 s5, s1
	s_cbranch_execz .LBB2_5
.LBB2_13:                               ;   in Loop: Header=BB2_3 Depth=1
	v_mad_nc_u64_u32 v[8:9], s8, s24, v[4:5]
	v_mad_nc_u64_u32 v[10:11], s10, s24, v[6:7]
	v_mov_b32_e32 v18, v0
	s_mov_b32 s15, 0
	s_delay_alu instid0(VALU_DEP_3) | instskip(NEXT) | instid1(VALU_DEP_3)
	v_mad_u32 v9, s9, s24, v9
	v_mad_u32 v11, s11, s24, v11
	s_branch .LBB2_15
.LBB2_14:                               ;   in Loop: Header=BB2_15 Depth=2
	s_wait_xcnt 0x0
	s_or_b32 exec_lo, exec_lo, s28
	v_add_nc_u32_e32 v18, 0x200, v18
	s_delay_alu instid0(VALU_DEP_4) | instskip(NEXT) | instid1(VALU_DEP_4)
	v_add_nc_u64_e32 v[8:9], 0x800, v[8:9]
	v_add_nc_u64_e32 v[10:11], s[16:17], v[10:11]
	s_delay_alu instid0(VALU_DEP_3) | instskip(SKIP_1) | instid1(SALU_CYCLE_1)
	v_cmp_le_i32_e64 s4, s27, v18
	s_or_b32 s15, s4, s15
	s_and_not1_b32 exec_lo, exec_lo, s15
	s_cbranch_execz .LBB2_20
.LBB2_15:                               ;   Parent Loop BB2_3 Depth=1
                                        ; =>  This Inner Loop Header: Depth=2
	s_mov_b32 s28, exec_lo
	v_cmpx_gt_i32_e64 s14, v18
	s_cbranch_execz .LBB2_14
; %bb.16:                               ;   in Loop: Header=BB2_15 Depth=2
	global_load_b32 v19, v[8:9], off
	global_load_b32 v20, v[10:11], off
	s_wait_loadcnt 0x0
	v_fmac_f32_e32 v2, v19, v20
	s_branch .LBB2_14
.LBB2_17:                               ;   in Loop: Header=BB2_3 Depth=1
	ds_load_b32 v2, v12
	s_or_b32 exec_lo, exec_lo, s4
	s_and_saveexec_b32 s4, s0
	s_cbranch_execz .LBB2_11
.LBB2_18:                               ;   in Loop: Header=BB2_3 Depth=1
	s_wait_dscnt 0x0
	ds_bpermute_b32 v8, v1, v2
	s_wait_dscnt 0x0
	v_add_f32_e32 v2, v2, v8
	ds_bpermute_b32 v8, v14, v2
	s_wait_dscnt 0x0
	v_add_f32_e32 v2, v2, v8
	;; [unrolled: 3-line block ×4, first 2 shown]
	s_or_b32 exec_lo, exec_lo, s4
	s_and_saveexec_b32 s4, vcc_lo
	s_cbranch_execz .LBB2_2
.LBB2_19:                               ;   in Loop: Header=BB2_3 Depth=1
	s_mul_u64 s[28:29], s[22:23], s[24:25]
	s_delay_alu instid0(SALU_CYCLE_1) | instskip(NEXT) | instid1(SALU_CYCLE_1)
	s_lshl_b64 s[28:29], s[28:29], 2
	s_add_nc_u64 s[28:29], s[6:7], s[28:29]
	s_wait_dscnt 0x0
	global_store_b32 v3, v2, s[28:29]
	s_branch .LBB2_2
.LBB2_20:                               ;   in Loop: Header=BB2_3 Depth=1
	s_or_b32 exec_lo, exec_lo, s15
	s_delay_alu instid0(SALU_CYCLE_1)
	s_or_b32 exec_lo, exec_lo, s5
	s_and_saveexec_b32 s4, s0
	s_cbranch_execnz .LBB2_6
	s_branch .LBB2_7
.LBB2_21:
	s_endpgm
	.section	.rodata,"a",@progbits
	.p2align	6, 0x0
	.amdhsa_kernel _ZL20rocblas_trmvt_kernelILi512ELb0ELb1ELb1EPKfPfS2_EviT3_lllT4_lllT5_li
		.amdhsa_group_segment_fixed_size 128
		.amdhsa_private_segment_fixed_size 0
		.amdhsa_kernarg_size 92
		.amdhsa_user_sgpr_count 2
		.amdhsa_user_sgpr_dispatch_ptr 0
		.amdhsa_user_sgpr_queue_ptr 0
		.amdhsa_user_sgpr_kernarg_segment_ptr 1
		.amdhsa_user_sgpr_dispatch_id 0
		.amdhsa_user_sgpr_kernarg_preload_length 0
		.amdhsa_user_sgpr_kernarg_preload_offset 0
		.amdhsa_user_sgpr_private_segment_size 0
		.amdhsa_wavefront_size32 1
		.amdhsa_uses_dynamic_stack 0
		.amdhsa_enable_private_segment 0
		.amdhsa_system_sgpr_workgroup_id_x 1
		.amdhsa_system_sgpr_workgroup_id_y 0
		.amdhsa_system_sgpr_workgroup_id_z 1
		.amdhsa_system_sgpr_workgroup_info 0
		.amdhsa_system_vgpr_workitem_id 0
		.amdhsa_next_free_vgpr 21
		.amdhsa_next_free_sgpr 30
		.amdhsa_named_barrier_count 0
		.amdhsa_reserve_vcc 1
		.amdhsa_float_round_mode_32 0
		.amdhsa_float_round_mode_16_64 0
		.amdhsa_float_denorm_mode_32 3
		.amdhsa_float_denorm_mode_16_64 3
		.amdhsa_fp16_overflow 0
		.amdhsa_memory_ordered 1
		.amdhsa_forward_progress 1
		.amdhsa_inst_pref_size 8
		.amdhsa_round_robin_scheduling 0
		.amdhsa_exception_fp_ieee_invalid_op 0
		.amdhsa_exception_fp_denorm_src 0
		.amdhsa_exception_fp_ieee_div_zero 0
		.amdhsa_exception_fp_ieee_overflow 0
		.amdhsa_exception_fp_ieee_underflow 0
		.amdhsa_exception_fp_ieee_inexact 0
		.amdhsa_exception_int_div_zero 0
	.end_amdhsa_kernel
	.section	.text._ZL20rocblas_trmvt_kernelILi512ELb0ELb1ELb1EPKfPfS2_EviT3_lllT4_lllT5_li,"axG",@progbits,_ZL20rocblas_trmvt_kernelILi512ELb0ELb1ELb1EPKfPfS2_EviT3_lllT4_lllT5_li,comdat
.Lfunc_end2:
	.size	_ZL20rocblas_trmvt_kernelILi512ELb0ELb1ELb1EPKfPfS2_EviT3_lllT4_lllT5_li, .Lfunc_end2-_ZL20rocblas_trmvt_kernelILi512ELb0ELb1ELb1EPKfPfS2_EviT3_lllT4_lllT5_li
                                        ; -- End function
	.set _ZL20rocblas_trmvt_kernelILi512ELb0ELb1ELb1EPKfPfS2_EviT3_lllT4_lllT5_li.num_vgpr, 21
	.set _ZL20rocblas_trmvt_kernelILi512ELb0ELb1ELb1EPKfPfS2_EviT3_lllT4_lllT5_li.num_agpr, 0
	.set _ZL20rocblas_trmvt_kernelILi512ELb0ELb1ELb1EPKfPfS2_EviT3_lllT4_lllT5_li.numbered_sgpr, 30
	.set _ZL20rocblas_trmvt_kernelILi512ELb0ELb1ELb1EPKfPfS2_EviT3_lllT4_lllT5_li.num_named_barrier, 0
	.set _ZL20rocblas_trmvt_kernelILi512ELb0ELb1ELb1EPKfPfS2_EviT3_lllT4_lllT5_li.private_seg_size, 0
	.set _ZL20rocblas_trmvt_kernelILi512ELb0ELb1ELb1EPKfPfS2_EviT3_lllT4_lllT5_li.uses_vcc, 1
	.set _ZL20rocblas_trmvt_kernelILi512ELb0ELb1ELb1EPKfPfS2_EviT3_lllT4_lllT5_li.uses_flat_scratch, 0
	.set _ZL20rocblas_trmvt_kernelILi512ELb0ELb1ELb1EPKfPfS2_EviT3_lllT4_lllT5_li.has_dyn_sized_stack, 0
	.set _ZL20rocblas_trmvt_kernelILi512ELb0ELb1ELb1EPKfPfS2_EviT3_lllT4_lllT5_li.has_recursion, 0
	.set _ZL20rocblas_trmvt_kernelILi512ELb0ELb1ELb1EPKfPfS2_EviT3_lllT4_lllT5_li.has_indirect_call, 0
	.section	.AMDGPU.csdata,"",@progbits
; Kernel info:
; codeLenInByte = 1024
; TotalNumSgprs: 32
; NumVgprs: 21
; ScratchSize: 0
; MemoryBound: 0
; FloatMode: 240
; IeeeMode: 1
; LDSByteSize: 128 bytes/workgroup (compile time only)
; SGPRBlocks: 0
; VGPRBlocks: 1
; NumSGPRsForWavesPerEU: 32
; NumVGPRsForWavesPerEU: 21
; NamedBarCnt: 0
; Occupancy: 16
; WaveLimiterHint : 0
; COMPUTE_PGM_RSRC2:SCRATCH_EN: 0
; COMPUTE_PGM_RSRC2:USER_SGPR: 2
; COMPUTE_PGM_RSRC2:TRAP_HANDLER: 0
; COMPUTE_PGM_RSRC2:TGID_X_EN: 1
; COMPUTE_PGM_RSRC2:TGID_Y_EN: 0
; COMPUTE_PGM_RSRC2:TGID_Z_EN: 1
; COMPUTE_PGM_RSRC2:TIDIG_COMP_CNT: 0
	.section	.text._ZL20rocblas_trmvn_kernelILi64ELi16ELb0ELb0EPKfPfS2_EviT3_lllT4_lllT5_li,"axG",@progbits,_ZL20rocblas_trmvn_kernelILi64ELi16ELb0ELb0EPKfPfS2_EviT3_lllT4_lllT5_li,comdat
	.globl	_ZL20rocblas_trmvn_kernelILi64ELi16ELb0ELb0EPKfPfS2_EviT3_lllT4_lllT5_li ; -- Begin function _ZL20rocblas_trmvn_kernelILi64ELi16ELb0ELb0EPKfPfS2_EviT3_lllT4_lllT5_li
	.p2align	8
	.type	_ZL20rocblas_trmvn_kernelILi64ELi16ELb0ELb0EPKfPfS2_EviT3_lllT4_lllT5_li,@function
_ZL20rocblas_trmvn_kernelILi64ELi16ELb0ELb0EPKfPfS2_EviT3_lllT4_lllT5_li: ; @_ZL20rocblas_trmvn_kernelILi64ELi16ELb0ELb0EPKfPfS2_EviT3_lllT4_lllT5_li
; %bb.0:
	s_load_b32 s3, s[0:1], 0x58
	s_bfe_u32 s2, ttmp6, 0x40014
	s_lshr_b32 s4, ttmp7, 16
	s_add_co_i32 s2, s2, 1
	s_bfe_u32 s6, ttmp6, 0x40008
	s_mul_i32 s5, s4, s2
	s_getreg_b32 s2, hwreg(HW_REG_IB_STS2, 6, 4)
	s_add_co_i32 s6, s6, s5
	s_cmp_eq_u32 s2, 0
	s_mov_b32 s25, 0
	s_cselect_b32 s24, s4, s6
	s_wait_kmcnt 0x0
	s_cmp_ge_u32 s24, s3
	s_cbranch_scc1 .LBB3_14
; %bb.1:
	s_clause 0x1
	s_load_b512 s[4:19], s[0:1], 0x8
	s_load_b32 s20, s[0:1], 0x6c
	s_bfe_u32 s21, ttmp6, 0x4000c
	s_and_b32 s22, ttmp6, 15
	s_add_co_i32 s21, s21, 1
	v_and_b32_e32 v14, 0x3ff, v0
	s_mul_i32 s21, ttmp9, s21
	v_bfe_u32 v2, v0, 10, 10
	s_add_co_i32 s22, s22, s21
	s_load_b32 s26, s[0:1], 0x0
	v_lshlrev_b32_e32 v16, 2, v14
	s_wait_kmcnt 0x0
	s_lshl_b64 s[28:29], s[6:7], 2
	s_lshl_b64 s[14:15], s[14:15], 2
	s_and_b32 s27, s20, 0xffff
	s_cmp_eq_u32 s2, 0
	v_mad_u32_u24 v17, v2, s27, v14
	s_cselect_b32 s2, ttmp9, s22
	s_load_b128 s[20:23], s[0:1], 0x48
	v_lshl_add_u32 v0, s2, 6, v14
	v_mov_b32_e32 v3, 0
	s_wait_xcnt 0x0
	v_cmp_eq_u32_e64 s0, 0, v2
	s_add_nc_u64 s[12:13], s[12:13], s[14:15]
	v_cmp_gt_u32_e64 s1, 64, v17
	v_ashrrev_i32_e32 v1, 31, v0
	v_mul_u64_e32 v[8:9], s[8:9], v[2:3]
	v_mul_u64_e32 v[10:11], s[16:17], v[2:3]
	v_cmp_gt_i32_e32 vcc_lo, s26, v0
	s_add_nc_u64 s[6:7], s[4:5], s[28:29]
	v_mad_nc_u64_u32 v[4:5], v0, s8, v[0:1]
	v_mul_u64_e32 v[6:7], s[16:17], v[0:1]
	v_lshlrev_b64_e32 v[12:13], 2, v[0:1]
	s_lshl_b64 s[14:15], s[16:17], 6
	s_lshl_b64 s[16:17], s[10:11], 2
	s_delay_alu instid0(VALU_DEP_3) | instskip(SKIP_3) | instid1(VALU_DEP_2)
	v_mad_u32 v3, v1, s8, v5
	v_mul_u32_u24_e32 v1, s27, v2
	s_and_b32 s27, s0, vcc_lo
	v_cmp_gt_i32_e64 s0, s26, v2
	v_lshl_add_u32 v1, v1, 2, v16
	s_delay_alu instid0(VALU_DEP_4) | instskip(SKIP_4) | instid1(VALU_DEP_3)
	v_mad_u32 v5, v0, s9, v3
	v_lshlrev_b32_e32 v3, 8, v2
	s_lshl_b64 s[8:9], s[8:9], 6
	v_lshl_add_u64 v[8:9], v[8:9], 2, s[28:29]
	v_lshl_add_u64 v[10:11], v[10:11], 2, s[12:13]
	v_add_nc_u32_e32 v3, v16, v3
	s_delay_alu instid0(VALU_DEP_3) | instskip(SKIP_2) | instid1(VALU_DEP_2)
	v_add_nc_u64_e32 v[14:15], v[8:9], v[12:13]
	s_wait_kmcnt 0x0
	v_add_nc_u64_e32 v[8:9], s[20:21], v[12:13]
	v_add_nc_u64_e32 v[12:13], s[4:5], v[14:15]
	s_lshl_b64 s[4:5], s[18:19], 2
	s_branch .LBB3_3
.LBB3_2:                                ;   in Loop: Header=BB3_3 Depth=1
	s_wait_xcnt 0x0
	s_or_b32 exec_lo, exec_lo, s2
	s_add_co_i32 s24, s24, 0x10000
	s_delay_alu instid0(SALU_CYCLE_1)
	s_cmp_lt_u32 s24, s3
	s_cbranch_scc0 .LBB3_14
.LBB3_3:                                ; =>This Loop Header: Depth=1
                                        ;     Child Loop BB3_8 Depth 2
	v_mov_b32_e32 v18, 0
	s_and_saveexec_b32 s2, s27
	s_cbranch_execz .LBB3_5
; %bb.4:                                ;   in Loop: Header=BB3_3 Depth=1
	s_mul_u64 s[20:21], s[10:11], s[24:25]
	s_mul_u64 s[28:29], s[18:19], s[24:25]
	s_lshl_b64 s[20:21], s[20:21], 2
	s_lshl_b64 s[28:29], s[28:29], 2
	s_add_nc_u64 s[20:21], s[6:7], s[20:21]
	s_add_nc_u64 s[28:29], s[12:13], s[28:29]
	v_lshl_add_u64 v[14:15], v[4:5], 2, s[20:21]
	v_lshl_add_u64 v[16:17], v[6:7], 2, s[28:29]
	global_load_b32 v18, v[14:15], off
	global_load_b32 v19, v[16:17], off
	s_wait_loadcnt 0x0
	v_mul_f32_e32 v18, v18, v19
.LBB3_5:                                ;   in Loop: Header=BB3_3 Depth=1
	s_wait_xcnt 0x0
	s_or_b32 exec_lo, exec_lo, s2
	s_and_saveexec_b32 s20, s0
	s_cbranch_execz .LBB3_11
; %bb.6:                                ;   in Loop: Header=BB3_3 Depth=1
	v_mad_nc_u64_u32 v[14:15], s4, s24, v[10:11]
	v_mad_nc_u64_u32 v[16:17], s16, s24, v[12:13]
	v_mov_b32_e32 v19, v2
	s_mov_b32 s21, 0
	s_delay_alu instid0(VALU_DEP_3) | instskip(NEXT) | instid1(VALU_DEP_3)
	v_mad_u32 v15, s5, s24, v15
	v_mad_u32 v17, s17, s24, v17
	s_branch .LBB3_8
.LBB3_7:                                ;   in Loop: Header=BB3_8 Depth=2
	s_wait_xcnt 0x0
	s_or_b32 exec_lo, exec_lo, s28
	v_add_nc_u32_e32 v19, 16, v19
	s_delay_alu instid0(VALU_DEP_4) | instskip(NEXT) | instid1(VALU_DEP_4)
	v_add_nc_u64_e32 v[14:15], s[14:15], v[14:15]
	v_add_nc_u64_e32 v[16:17], s[8:9], v[16:17]
	s_delay_alu instid0(VALU_DEP_3) | instskip(SKIP_1) | instid1(SALU_CYCLE_1)
	v_cmp_le_i32_e64 s2, s26, v19
	s_or_b32 s21, s2, s21
	s_and_not1_b32 exec_lo, exec_lo, s21
	s_cbranch_execz .LBB3_10
.LBB3_8:                                ;   Parent Loop BB3_3 Depth=1
                                        ; =>  This Inner Loop Header: Depth=2
	s_mov_b32 s28, exec_lo
	v_cmpx_gt_i32_e64 v19, v0
	s_cbranch_execz .LBB3_7
; %bb.9:                                ;   in Loop: Header=BB3_8 Depth=2
	global_load_b32 v20, v[16:17], off
	global_load_b32 v21, v[14:15], off
	s_wait_loadcnt 0x0
	v_fmac_f32_e32 v18, v20, v21
	s_branch .LBB3_7
.LBB3_10:                               ;   in Loop: Header=BB3_3 Depth=1
	s_or_b32 exec_lo, exec_lo, s21
.LBB3_11:                               ;   in Loop: Header=BB3_3 Depth=1
	s_delay_alu instid0(SALU_CYCLE_1)
	s_or_b32 exec_lo, exec_lo, s20
	ds_store_b32 v3, v18
	s_wait_dscnt 0x0
	s_barrier_signal -1
	s_barrier_wait -1
	s_and_saveexec_b32 s2, s1
	s_cbranch_execz .LBB3_2
; %bb.12:                               ;   in Loop: Header=BB3_3 Depth=1
	ds_load_2addr_stride64_b32 v[14:15], v1 offset1:1
	ds_load_2addr_stride64_b32 v[16:17], v1 offset0:2 offset1:3
	ds_load_2addr_stride64_b32 v[18:19], v1 offset0:4 offset1:5
	;; [unrolled: 1-line block ×3, first 2 shown]
	s_wait_dscnt 0x3
	v_add_f32_e32 v14, v14, v15
	s_wait_dscnt 0x2
	s_delay_alu instid0(VALU_DEP_1) | instskip(NEXT) | instid1(VALU_DEP_1)
	v_add_f32_e32 v14, v16, v14
	v_add_f32_e32 v14, v17, v14
	s_wait_dscnt 0x1
	s_delay_alu instid0(VALU_DEP_1) | instskip(SKIP_3) | instid1(VALU_DEP_1)
	v_add_f32_e32 v16, v18, v14
	ds_load_2addr_stride64_b32 v[14:15], v1 offset0:8 offset1:9
	v_add_f32_e32 v16, v19, v16
	s_wait_dscnt 0x1
	v_add_f32_e32 v18, v20, v16
	ds_load_2addr_stride64_b32 v[16:17], v1 offset0:10 offset1:11
	v_add_f32_e32 v22, v21, v18
	ds_load_2addr_stride64_b32 v[18:19], v1 offset0:12 offset1:13
	ds_load_2addr_stride64_b32 v[20:21], v1 offset0:14 offset1:15
	s_wait_dscnt 0x3
	v_add_f32_e32 v14, v14, v22
	s_delay_alu instid0(VALU_DEP_1) | instskip(SKIP_1) | instid1(VALU_DEP_1)
	v_add_f32_e32 v14, v15, v14
	s_wait_dscnt 0x2
	v_add_f32_e32 v14, v16, v14
	s_delay_alu instid0(VALU_DEP_1) | instskip(SKIP_1) | instid1(VALU_DEP_1)
	v_add_f32_e32 v14, v17, v14
	;; [unrolled: 4-line block ×3, first 2 shown]
	s_wait_dscnt 0x0
	v_add_f32_e32 v14, v20, v14
	s_delay_alu instid0(VALU_DEP_1)
	v_add_f32_e32 v14, v21, v14
	ds_store_b32 v1, v14
	s_and_b32 exec_lo, exec_lo, vcc_lo
	s_cbranch_execz .LBB3_2
; %bb.13:                               ;   in Loop: Header=BB3_3 Depth=1
	s_mul_u64 s[20:21], s[22:23], s[24:25]
	s_delay_alu instid0(SALU_CYCLE_1)
	v_lshl_add_u64 v[16:17], s[20:21], 2, v[8:9]
	global_store_b32 v[16:17], v14, off
	s_branch .LBB3_2
.LBB3_14:
	s_endpgm
	.section	.rodata,"a",@progbits
	.p2align	6, 0x0
	.amdhsa_kernel _ZL20rocblas_trmvn_kernelILi64ELi16ELb0ELb0EPKfPfS2_EviT3_lllT4_lllT5_li
		.amdhsa_group_segment_fixed_size 4096
		.amdhsa_private_segment_fixed_size 0
		.amdhsa_kernarg_size 352
		.amdhsa_user_sgpr_count 2
		.amdhsa_user_sgpr_dispatch_ptr 0
		.amdhsa_user_sgpr_queue_ptr 0
		.amdhsa_user_sgpr_kernarg_segment_ptr 1
		.amdhsa_user_sgpr_dispatch_id 0
		.amdhsa_user_sgpr_kernarg_preload_length 0
		.amdhsa_user_sgpr_kernarg_preload_offset 0
		.amdhsa_user_sgpr_private_segment_size 0
		.amdhsa_wavefront_size32 1
		.amdhsa_uses_dynamic_stack 0
		.amdhsa_enable_private_segment 0
		.amdhsa_system_sgpr_workgroup_id_x 1
		.amdhsa_system_sgpr_workgroup_id_y 0
		.amdhsa_system_sgpr_workgroup_id_z 1
		.amdhsa_system_sgpr_workgroup_info 0
		.amdhsa_system_vgpr_workitem_id 1
		.amdhsa_next_free_vgpr 23
		.amdhsa_next_free_sgpr 30
		.amdhsa_named_barrier_count 0
		.amdhsa_reserve_vcc 1
		.amdhsa_float_round_mode_32 0
		.amdhsa_float_round_mode_16_64 0
		.amdhsa_float_denorm_mode_32 3
		.amdhsa_float_denorm_mode_16_64 3
		.amdhsa_fp16_overflow 0
		.amdhsa_memory_ordered 1
		.amdhsa_forward_progress 1
		.amdhsa_inst_pref_size 8
		.amdhsa_round_robin_scheduling 0
		.amdhsa_exception_fp_ieee_invalid_op 0
		.amdhsa_exception_fp_denorm_src 0
		.amdhsa_exception_fp_ieee_div_zero 0
		.amdhsa_exception_fp_ieee_overflow 0
		.amdhsa_exception_fp_ieee_underflow 0
		.amdhsa_exception_fp_ieee_inexact 0
		.amdhsa_exception_int_div_zero 0
	.end_amdhsa_kernel
	.section	.text._ZL20rocblas_trmvn_kernelILi64ELi16ELb0ELb0EPKfPfS2_EviT3_lllT4_lllT5_li,"axG",@progbits,_ZL20rocblas_trmvn_kernelILi64ELi16ELb0ELb0EPKfPfS2_EviT3_lllT4_lllT5_li,comdat
.Lfunc_end3:
	.size	_ZL20rocblas_trmvn_kernelILi64ELi16ELb0ELb0EPKfPfS2_EviT3_lllT4_lllT5_li, .Lfunc_end3-_ZL20rocblas_trmvn_kernelILi64ELi16ELb0ELb0EPKfPfS2_EviT3_lllT4_lllT5_li
                                        ; -- End function
	.set _ZL20rocblas_trmvn_kernelILi64ELi16ELb0ELb0EPKfPfS2_EviT3_lllT4_lllT5_li.num_vgpr, 23
	.set _ZL20rocblas_trmvn_kernelILi64ELi16ELb0ELb0EPKfPfS2_EviT3_lllT4_lllT5_li.num_agpr, 0
	.set _ZL20rocblas_trmvn_kernelILi64ELi16ELb0ELb0EPKfPfS2_EviT3_lllT4_lllT5_li.numbered_sgpr, 30
	.set _ZL20rocblas_trmvn_kernelILi64ELi16ELb0ELb0EPKfPfS2_EviT3_lllT4_lllT5_li.num_named_barrier, 0
	.set _ZL20rocblas_trmvn_kernelILi64ELi16ELb0ELb0EPKfPfS2_EviT3_lllT4_lllT5_li.private_seg_size, 0
	.set _ZL20rocblas_trmvn_kernelILi64ELi16ELb0ELb0EPKfPfS2_EviT3_lllT4_lllT5_li.uses_vcc, 1
	.set _ZL20rocblas_trmvn_kernelILi64ELi16ELb0ELb0EPKfPfS2_EviT3_lllT4_lllT5_li.uses_flat_scratch, 0
	.set _ZL20rocblas_trmvn_kernelILi64ELi16ELb0ELb0EPKfPfS2_EviT3_lllT4_lllT5_li.has_dyn_sized_stack, 0
	.set _ZL20rocblas_trmvn_kernelILi64ELi16ELb0ELb0EPKfPfS2_EviT3_lllT4_lllT5_li.has_recursion, 0
	.set _ZL20rocblas_trmvn_kernelILi64ELi16ELb0ELb0EPKfPfS2_EviT3_lllT4_lllT5_li.has_indirect_call, 0
	.section	.AMDGPU.csdata,"",@progbits
; Kernel info:
; codeLenInByte = 916
; TotalNumSgprs: 32
; NumVgprs: 23
; ScratchSize: 0
; MemoryBound: 0
; FloatMode: 240
; IeeeMode: 1
; LDSByteSize: 4096 bytes/workgroup (compile time only)
; SGPRBlocks: 0
; VGPRBlocks: 1
; NumSGPRsForWavesPerEU: 32
; NumVGPRsForWavesPerEU: 23
; NamedBarCnt: 0
; Occupancy: 16
; WaveLimiterHint : 0
; COMPUTE_PGM_RSRC2:SCRATCH_EN: 0
; COMPUTE_PGM_RSRC2:USER_SGPR: 2
; COMPUTE_PGM_RSRC2:TRAP_HANDLER: 0
; COMPUTE_PGM_RSRC2:TGID_X_EN: 1
; COMPUTE_PGM_RSRC2:TGID_Y_EN: 0
; COMPUTE_PGM_RSRC2:TGID_Z_EN: 1
; COMPUTE_PGM_RSRC2:TIDIG_COMP_CNT: 1
	.section	.text._ZL20rocblas_trmvt_kernelILi512ELb0ELb0ELb0EPKfPfS2_EviT3_lllT4_lllT5_li,"axG",@progbits,_ZL20rocblas_trmvt_kernelILi512ELb0ELb0ELb0EPKfPfS2_EviT3_lllT4_lllT5_li,comdat
	.globl	_ZL20rocblas_trmvt_kernelILi512ELb0ELb0ELb0EPKfPfS2_EviT3_lllT4_lllT5_li ; -- Begin function _ZL20rocblas_trmvt_kernelILi512ELb0ELb0ELb0EPKfPfS2_EviT3_lllT4_lllT5_li
	.p2align	8
	.type	_ZL20rocblas_trmvt_kernelILi512ELb0ELb0ELb0EPKfPfS2_EviT3_lllT4_lllT5_li,@function
_ZL20rocblas_trmvt_kernelILi512ELb0ELb0ELb0EPKfPfS2_EviT3_lllT4_lllT5_li: ; @_ZL20rocblas_trmvt_kernelILi512ELb0ELb0ELb0EPKfPfS2_EviT3_lllT4_lllT5_li
; %bb.0:
	s_load_b32 s28, s[0:1], 0x58
	s_bfe_u32 s2, ttmp6, 0x40014
	s_lshr_b32 s3, ttmp7, 16
	s_add_co_i32 s2, s2, 1
	s_bfe_u32 s5, ttmp6, 0x40008
	s_mul_i32 s4, s3, s2
	s_getreg_b32 s2, hwreg(HW_REG_IB_STS2, 6, 4)
	s_add_co_i32 s5, s5, s4
	s_cmp_eq_u32 s2, 0
	s_mov_b32 s25, 0
	s_cselect_b32 s24, s3, s5
	s_wait_kmcnt 0x0
	s_cmp_ge_u32 s24, s28
	s_cbranch_scc1 .LBB4_21
; %bb.1:
	s_clause 0x2
	s_load_b32 s29, s[0:1], 0x0
	s_load_b512 s[4:19], s[0:1], 0x8
	s_load_b128 s[20:23], s[0:1], 0x48
	v_mbcnt_lo_u32_b32 v7, -1, 0
	s_wait_xcnt 0x0
	s_bfe_u32 s0, ttmp6, 0x4000c
	v_dual_mov_b32 v3, 0 :: v_dual_bitop2_b32 v6, 31, v0 bitop3:0x40
	s_add_co_i32 s1, s0, 1
	s_and_b32 s3, ttmp6, 15
	s_mul_i32 s26, ttmp9, s1
	v_cmp_gt_u32_e64 s1, 24, v7
	v_dual_mov_b32 v1, v3 :: v_dual_lshlrev_b32 v14, 2, v6
	s_add_co_i32 s3, s3, s26
	v_lshl_or_b32 v15, v7, 2, 64
	v_cndmask_b32_e64 v10, 0, 8, s1
	v_cmp_gt_u32_e64 s0, 32, v0
	v_cmp_eq_u32_e32 vcc_lo, 0, v0
	s_wait_kmcnt 0x0
	v_cmp_gt_i32_e64 s1, s29, v0
	v_mul_u64_e32 v[8:9], s[16:17], v[0:1]
	s_lshl_b64 s[14:15], s[14:15], 2
	s_lshl_b64 s[26:27], s[6:7], 2
	s_cmp_eq_u32 s2, 0
	v_cndmask_b32_e64 v2, 0, v0, s1
	v_cmp_gt_u32_e64 s2, 28, v7
	v_add_lshl_u32 v1, v10, v7, 2
	v_lshrrev_b32_e32 v10, 3, v0
	s_cselect_b32 s6, ttmp9, s3
	v_lshlrev_b32_e32 v2, 2, v2
	v_cndmask_b32_e64 v11, 0, 4, s2
	s_add_nc_u64 s[2:3], s[4:5], s[26:27]
	s_ashr_i32 s7, s6, 31
	v_and_b32_e32 v19, 60, v10
	v_add_nc_u64_e32 v[4:5], s[2:3], v[2:3]
	v_cmp_gt_u32_e64 s2, 30, v7
	v_add_lshl_u32 v16, v11, v7, 2
	s_mul_u64 s[30:31], s[16:17], s[6:7]
	s_lshl_b64 s[16:17], s[16:17], 11
	v_cndmask_b32_e64 v12, 0, 2, s2
	s_mul_u64 s[2:3], s[8:9], s[6:7]
	s_add_nc_u64 s[8:9], s[12:13], s[14:15]
	s_lshl_b64 s[12:13], s[2:3], 2
	v_cmp_ne_u32_e64 s2, 31, v7
	v_add_nc_u64_e32 v[4:5], s[12:13], v[4:5]
	s_add_nc_u64 s[12:13], s[12:13], s[26:27]
	v_add_lshl_u32 v17, v12, v7, 2
	s_add_nc_u64 s[4:5], s[4:5], s[12:13]
	v_add_co_ci_u32_e64 v13, null, 0, v7, s2
	v_cmp_eq_u32_e64 s2, 0, v6
	v_cmp_gt_u32_e64 s3, 16, v0
	v_lshl_add_u64 v[8:9], v[8:9], 2, s[8:9]
	s_delay_alu instid0(VALU_DEP_4)
	v_lshlrev_b32_e32 v18, 2, v13
	v_add_nc_u64_e32 v[6:7], s[4:5], v[2:3]
	s_lshl_b64 s[14:15], s[6:7], 2
	s_lshl_b64 s[26:27], s[30:31], 2
	s_add_nc_u64 s[12:13], s[20:21], s[14:15]
	s_lshl_b64 s[14:15], s[10:11], 2
	s_lshl_b64 s[20:21], s[18:19], 2
	s_branch .LBB4_3
.LBB4_2:                                ;   in Loop: Header=BB4_3 Depth=1
	s_wait_xcnt 0x0
	s_or_b32 exec_lo, exec_lo, s4
	s_add_co_i32 s24, s24, 0x10000
	s_delay_alu instid0(SALU_CYCLE_1)
	s_cmp_lt_u32 s24, s28
	s_cbranch_scc0 .LBB4_21
.LBB4_3:                                ; =>This Loop Header: Depth=1
                                        ;     Child Loop BB4_15 Depth 2
	s_wait_dscnt 0x0
	v_mov_b32_e32 v2, 0
	s_and_saveexec_b32 s4, vcc_lo
	s_cbranch_execnz .LBB4_12
; %bb.4:                                ;   in Loop: Header=BB4_3 Depth=1
	s_or_b32 exec_lo, exec_lo, s4
	s_and_saveexec_b32 s5, s1
	s_cbranch_execnz .LBB4_13
.LBB4_5:                                ;   in Loop: Header=BB4_3 Depth=1
	s_or_b32 exec_lo, exec_lo, s5
	s_and_saveexec_b32 s4, s0
.LBB4_6:                                ;   in Loop: Header=BB4_3 Depth=1
	ds_store_b32 v14, v3
.LBB4_7:                                ;   in Loop: Header=BB4_3 Depth=1
	s_or_b32 exec_lo, exec_lo, s4
	ds_bpermute_b32 v10, v15, v2
	s_wait_dscnt 0x0
	s_barrier_signal -1
	s_barrier_wait -1
	v_add_f32_e32 v2, v2, v10
	ds_bpermute_b32 v10, v1, v2
	s_wait_dscnt 0x0
	v_add_f32_e32 v2, v2, v10
	ds_bpermute_b32 v10, v16, v2
	s_wait_dscnt 0x0
	;; [unrolled: 3-line block ×3, first 2 shown]
	v_add_f32_e32 v2, v2, v10
	ds_bpermute_b32 v10, v18, v2
	s_and_saveexec_b32 s4, s2
	s_cbranch_execz .LBB4_9
; %bb.8:                                ;   in Loop: Header=BB4_3 Depth=1
	s_wait_dscnt 0x0
	v_add_f32_e32 v2, v2, v10
	ds_store_b32 v19, v2
.LBB4_9:                                ;   in Loop: Header=BB4_3 Depth=1
	s_or_b32 exec_lo, exec_lo, s4
	v_mov_b32_e32 v2, 0
	s_wait_dscnt 0x0
	s_barrier_signal -1
	s_barrier_wait -1
	s_and_saveexec_b32 s4, s3
	s_cbranch_execnz .LBB4_17
; %bb.10:                               ;   in Loop: Header=BB4_3 Depth=1
	s_or_b32 exec_lo, exec_lo, s4
	s_and_saveexec_b32 s4, s0
	s_cbranch_execnz .LBB4_18
.LBB4_11:                               ;   in Loop: Header=BB4_3 Depth=1
	s_or_b32 exec_lo, exec_lo, s4
	s_and_saveexec_b32 s4, vcc_lo
	s_cbranch_execz .LBB4_2
	s_branch .LBB4_19
.LBB4_12:                               ;   in Loop: Header=BB4_3 Depth=1
	s_mul_u64 s[30:31], s[10:11], s[24:25]
	s_delay_alu instid0(SALU_CYCLE_1) | instskip(SKIP_1) | instid1(SALU_CYCLE_1)
	v_lshl_add_u64 v[10:11], s[30:31], 2, v[4:5]
	s_mul_u64 s[30:31], s[18:19], s[24:25]
	s_lshl_b64 s[30:31], s[30:31], 2
	s_delay_alu instid0(SALU_CYCLE_1) | instskip(NEXT) | instid1(VALU_DEP_1)
	s_add_nc_u64 s[30:31], s[8:9], s[30:31]
	v_lshl_add_u64 v[10:11], s[6:7], 2, v[10:11]
	s_add_nc_u64 s[30:31], s[30:31], s[26:27]
	global_load_b32 v2, v[10:11], off
	global_load_b32 v12, v3, s[30:31]
	s_wait_loadcnt 0x0
	v_fma_f32 v2, v2, v12, 0
	s_wait_xcnt 0x0
	s_or_b32 exec_lo, exec_lo, s4
	s_and_saveexec_b32 s5, s1
	s_cbranch_execz .LBB4_5
.LBB4_13:                               ;   in Loop: Header=BB4_3 Depth=1
	v_mad_nc_u64_u32 v[10:11], s14, s24, v[6:7]
	v_mad_nc_u64_u32 v[12:13], s20, s24, v[8:9]
	v_mov_b32_e32 v20, v0
	s_mov_b32 s30, 0
	s_delay_alu instid0(VALU_DEP_3) | instskip(NEXT) | instid1(VALU_DEP_3)
	v_mad_u32 v11, s15, s24, v11
	v_mad_u32 v13, s21, s24, v13
	s_branch .LBB4_15
.LBB4_14:                               ;   in Loop: Header=BB4_15 Depth=2
	s_wait_xcnt 0x0
	s_or_b32 exec_lo, exec_lo, s31
	v_add_nc_u32_e32 v20, 0x200, v20
	s_delay_alu instid0(VALU_DEP_4) | instskip(NEXT) | instid1(VALU_DEP_4)
	v_add_nc_u64_e32 v[10:11], 0x800, v[10:11]
	v_add_nc_u64_e32 v[12:13], s[16:17], v[12:13]
	s_delay_alu instid0(VALU_DEP_3) | instskip(SKIP_1) | instid1(SALU_CYCLE_1)
	v_cmp_le_i32_e64 s4, s29, v20
	s_or_b32 s30, s4, s30
	s_and_not1_b32 exec_lo, exec_lo, s30
	s_cbranch_execz .LBB4_20
.LBB4_15:                               ;   Parent Loop BB4_3 Depth=1
                                        ; =>  This Inner Loop Header: Depth=2
	s_mov_b32 s31, exec_lo
	v_cmpx_gt_i32_e64 s6, v20
	s_cbranch_execz .LBB4_14
; %bb.16:                               ;   in Loop: Header=BB4_15 Depth=2
	global_load_b32 v21, v[10:11], off
	global_load_b32 v22, v[12:13], off
	s_wait_loadcnt 0x0
	v_fmac_f32_e32 v2, v21, v22
	s_branch .LBB4_14
.LBB4_17:                               ;   in Loop: Header=BB4_3 Depth=1
	ds_load_b32 v2, v14
	s_or_b32 exec_lo, exec_lo, s4
	s_and_saveexec_b32 s4, s0
	s_cbranch_execz .LBB4_11
.LBB4_18:                               ;   in Loop: Header=BB4_3 Depth=1
	s_wait_dscnt 0x0
	ds_bpermute_b32 v10, v1, v2
	s_wait_dscnt 0x0
	v_add_f32_e32 v2, v2, v10
	ds_bpermute_b32 v10, v16, v2
	s_wait_dscnt 0x0
	v_add_f32_e32 v2, v2, v10
	;; [unrolled: 3-line block ×4, first 2 shown]
	s_or_b32 exec_lo, exec_lo, s4
	s_and_saveexec_b32 s4, vcc_lo
	s_cbranch_execz .LBB4_2
.LBB4_19:                               ;   in Loop: Header=BB4_3 Depth=1
	s_mul_u64 s[30:31], s[22:23], s[24:25]
	s_delay_alu instid0(SALU_CYCLE_1) | instskip(NEXT) | instid1(SALU_CYCLE_1)
	s_lshl_b64 s[30:31], s[30:31], 2
	s_add_nc_u64 s[30:31], s[12:13], s[30:31]
	s_wait_dscnt 0x0
	global_store_b32 v3, v2, s[30:31]
	s_branch .LBB4_2
.LBB4_20:                               ;   in Loop: Header=BB4_3 Depth=1
	s_or_b32 exec_lo, exec_lo, s30
	s_delay_alu instid0(SALU_CYCLE_1)
	s_or_b32 exec_lo, exec_lo, s5
	s_and_saveexec_b32 s4, s0
	s_cbranch_execnz .LBB4_6
	s_branch .LBB4_7
.LBB4_21:
	s_endpgm
	.section	.rodata,"a",@progbits
	.p2align	6, 0x0
	.amdhsa_kernel _ZL20rocblas_trmvt_kernelILi512ELb0ELb0ELb0EPKfPfS2_EviT3_lllT4_lllT5_li
		.amdhsa_group_segment_fixed_size 128
		.amdhsa_private_segment_fixed_size 0
		.amdhsa_kernarg_size 92
		.amdhsa_user_sgpr_count 2
		.amdhsa_user_sgpr_dispatch_ptr 0
		.amdhsa_user_sgpr_queue_ptr 0
		.amdhsa_user_sgpr_kernarg_segment_ptr 1
		.amdhsa_user_sgpr_dispatch_id 0
		.amdhsa_user_sgpr_kernarg_preload_length 0
		.amdhsa_user_sgpr_kernarg_preload_offset 0
		.amdhsa_user_sgpr_private_segment_size 0
		.amdhsa_wavefront_size32 1
		.amdhsa_uses_dynamic_stack 0
		.amdhsa_enable_private_segment 0
		.amdhsa_system_sgpr_workgroup_id_x 1
		.amdhsa_system_sgpr_workgroup_id_y 0
		.amdhsa_system_sgpr_workgroup_id_z 1
		.amdhsa_system_sgpr_workgroup_info 0
		.amdhsa_system_vgpr_workitem_id 0
		.amdhsa_next_free_vgpr 23
		.amdhsa_next_free_sgpr 32
		.amdhsa_named_barrier_count 0
		.amdhsa_reserve_vcc 1
		.amdhsa_float_round_mode_32 0
		.amdhsa_float_round_mode_16_64 0
		.amdhsa_float_denorm_mode_32 3
		.amdhsa_float_denorm_mode_16_64 3
		.amdhsa_fp16_overflow 0
		.amdhsa_memory_ordered 1
		.amdhsa_forward_progress 1
		.amdhsa_inst_pref_size 9
		.amdhsa_round_robin_scheduling 0
		.amdhsa_exception_fp_ieee_invalid_op 0
		.amdhsa_exception_fp_denorm_src 0
		.amdhsa_exception_fp_ieee_div_zero 0
		.amdhsa_exception_fp_ieee_overflow 0
		.amdhsa_exception_fp_ieee_underflow 0
		.amdhsa_exception_fp_ieee_inexact 0
		.amdhsa_exception_int_div_zero 0
	.end_amdhsa_kernel
	.section	.text._ZL20rocblas_trmvt_kernelILi512ELb0ELb0ELb0EPKfPfS2_EviT3_lllT4_lllT5_li,"axG",@progbits,_ZL20rocblas_trmvt_kernelILi512ELb0ELb0ELb0EPKfPfS2_EviT3_lllT4_lllT5_li,comdat
.Lfunc_end4:
	.size	_ZL20rocblas_trmvt_kernelILi512ELb0ELb0ELb0EPKfPfS2_EviT3_lllT4_lllT5_li, .Lfunc_end4-_ZL20rocblas_trmvt_kernelILi512ELb0ELb0ELb0EPKfPfS2_EviT3_lllT4_lllT5_li
                                        ; -- End function
	.set _ZL20rocblas_trmvt_kernelILi512ELb0ELb0ELb0EPKfPfS2_EviT3_lllT4_lllT5_li.num_vgpr, 23
	.set _ZL20rocblas_trmvt_kernelILi512ELb0ELb0ELb0EPKfPfS2_EviT3_lllT4_lllT5_li.num_agpr, 0
	.set _ZL20rocblas_trmvt_kernelILi512ELb0ELb0ELb0EPKfPfS2_EviT3_lllT4_lllT5_li.numbered_sgpr, 32
	.set _ZL20rocblas_trmvt_kernelILi512ELb0ELb0ELb0EPKfPfS2_EviT3_lllT4_lllT5_li.num_named_barrier, 0
	.set _ZL20rocblas_trmvt_kernelILi512ELb0ELb0ELb0EPKfPfS2_EviT3_lllT4_lllT5_li.private_seg_size, 0
	.set _ZL20rocblas_trmvt_kernelILi512ELb0ELb0ELb0EPKfPfS2_EviT3_lllT4_lllT5_li.uses_vcc, 1
	.set _ZL20rocblas_trmvt_kernelILi512ELb0ELb0ELb0EPKfPfS2_EviT3_lllT4_lllT5_li.uses_flat_scratch, 0
	.set _ZL20rocblas_trmvt_kernelILi512ELb0ELb0ELb0EPKfPfS2_EviT3_lllT4_lllT5_li.has_dyn_sized_stack, 0
	.set _ZL20rocblas_trmvt_kernelILi512ELb0ELb0ELb0EPKfPfS2_EviT3_lllT4_lllT5_li.has_recursion, 0
	.set _ZL20rocblas_trmvt_kernelILi512ELb0ELb0ELb0EPKfPfS2_EviT3_lllT4_lllT5_li.has_indirect_call, 0
	.section	.AMDGPU.csdata,"",@progbits
; Kernel info:
; codeLenInByte = 1068
; TotalNumSgprs: 34
; NumVgprs: 23
; ScratchSize: 0
; MemoryBound: 0
; FloatMode: 240
; IeeeMode: 1
; LDSByteSize: 128 bytes/workgroup (compile time only)
; SGPRBlocks: 0
; VGPRBlocks: 1
; NumSGPRsForWavesPerEU: 34
; NumVGPRsForWavesPerEU: 23
; NamedBarCnt: 0
; Occupancy: 16
; WaveLimiterHint : 0
; COMPUTE_PGM_RSRC2:SCRATCH_EN: 0
; COMPUTE_PGM_RSRC2:USER_SGPR: 2
; COMPUTE_PGM_RSRC2:TRAP_HANDLER: 0
; COMPUTE_PGM_RSRC2:TGID_X_EN: 1
; COMPUTE_PGM_RSRC2:TGID_Y_EN: 0
; COMPUTE_PGM_RSRC2:TGID_Z_EN: 1
; COMPUTE_PGM_RSRC2:TIDIG_COMP_CNT: 0
	.section	.text._ZL20rocblas_trmvt_kernelILi512ELb0ELb1ELb0EPKfPfS2_EviT3_lllT4_lllT5_li,"axG",@progbits,_ZL20rocblas_trmvt_kernelILi512ELb0ELb1ELb0EPKfPfS2_EviT3_lllT4_lllT5_li,comdat
	.globl	_ZL20rocblas_trmvt_kernelILi512ELb0ELb1ELb0EPKfPfS2_EviT3_lllT4_lllT5_li ; -- Begin function _ZL20rocblas_trmvt_kernelILi512ELb0ELb1ELb0EPKfPfS2_EviT3_lllT4_lllT5_li
	.p2align	8
	.type	_ZL20rocblas_trmvt_kernelILi512ELb0ELb1ELb0EPKfPfS2_EviT3_lllT4_lllT5_li,@function
_ZL20rocblas_trmvt_kernelILi512ELb0ELb1ELb0EPKfPfS2_EviT3_lllT4_lllT5_li: ; @_ZL20rocblas_trmvt_kernelILi512ELb0ELb1ELb0EPKfPfS2_EviT3_lllT4_lllT5_li
; %bb.0:
	s_load_b32 s28, s[0:1], 0x58
	s_bfe_u32 s2, ttmp6, 0x40014
	s_lshr_b32 s3, ttmp7, 16
	s_add_co_i32 s2, s2, 1
	s_bfe_u32 s5, ttmp6, 0x40008
	s_mul_i32 s4, s3, s2
	s_getreg_b32 s2, hwreg(HW_REG_IB_STS2, 6, 4)
	s_add_co_i32 s5, s5, s4
	s_cmp_eq_u32 s2, 0
	s_mov_b32 s25, 0
	s_cselect_b32 s24, s3, s5
	s_wait_kmcnt 0x0
	s_cmp_ge_u32 s24, s28
	s_cbranch_scc1 .LBB5_21
; %bb.1:
	s_clause 0x2
	s_load_b32 s29, s[0:1], 0x0
	s_load_b512 s[4:19], s[0:1], 0x8
	s_load_b128 s[20:23], s[0:1], 0x48
	v_mbcnt_lo_u32_b32 v7, -1, 0
	s_wait_xcnt 0x0
	s_bfe_u32 s0, ttmp6, 0x4000c
	v_dual_mov_b32 v3, 0 :: v_dual_bitop2_b32 v6, 31, v0 bitop3:0x40
	s_add_co_i32 s1, s0, 1
	s_and_b32 s3, ttmp6, 15
	s_mul_i32 s26, ttmp9, s1
	v_cmp_gt_u32_e64 s1, 24, v7
	v_dual_mov_b32 v1, v3 :: v_dual_lshlrev_b32 v14, 2, v6
	s_add_co_i32 s3, s3, s26
	v_lshl_or_b32 v15, v7, 2, 64
	v_cndmask_b32_e64 v10, 0, 8, s1
	v_cmp_gt_u32_e64 s0, 32, v0
	v_cmp_eq_u32_e32 vcc_lo, 0, v0
	s_wait_kmcnt 0x0
	v_cmp_gt_i32_e64 s1, s29, v0
	v_mul_u64_e32 v[8:9], s[16:17], v[0:1]
	s_lshl_b64 s[14:15], s[14:15], 2
	s_lshl_b64 s[26:27], s[6:7], 2
	s_cmp_eq_u32 s2, 0
	v_cndmask_b32_e64 v2, 0, v0, s1
	v_cmp_gt_u32_e64 s2, 28, v7
	v_add_lshl_u32 v1, v10, v7, 2
	v_lshrrev_b32_e32 v10, 3, v0
	s_cselect_b32 s6, ttmp9, s3
	v_lshlrev_b32_e32 v2, 2, v2
	v_cndmask_b32_e64 v11, 0, 4, s2
	s_add_nc_u64 s[2:3], s[4:5], s[26:27]
	s_ashr_i32 s7, s6, 31
	v_and_b32_e32 v19, 60, v10
	v_add_nc_u64_e32 v[4:5], s[2:3], v[2:3]
	v_cmp_gt_u32_e64 s2, 30, v7
	v_add_lshl_u32 v16, v11, v7, 2
	s_mul_u64 s[30:31], s[16:17], s[6:7]
	s_lshl_b64 s[16:17], s[16:17], 11
	v_cndmask_b32_e64 v12, 0, 2, s2
	s_mul_u64 s[2:3], s[8:9], s[6:7]
	s_add_nc_u64 s[8:9], s[12:13], s[14:15]
	s_lshl_b64 s[12:13], s[2:3], 2
	v_cmp_ne_u32_e64 s2, 31, v7
	v_add_nc_u64_e32 v[4:5], s[12:13], v[4:5]
	s_add_nc_u64 s[12:13], s[12:13], s[26:27]
	v_add_lshl_u32 v17, v12, v7, 2
	s_add_nc_u64 s[4:5], s[4:5], s[12:13]
	v_add_co_ci_u32_e64 v13, null, 0, v7, s2
	v_cmp_eq_u32_e64 s2, 0, v6
	v_cmp_gt_u32_e64 s3, 16, v0
	v_lshl_add_u64 v[8:9], v[8:9], 2, s[8:9]
	s_delay_alu instid0(VALU_DEP_4)
	v_lshlrev_b32_e32 v18, 2, v13
	v_add_nc_u64_e32 v[6:7], s[4:5], v[2:3]
	s_lshl_b64 s[14:15], s[6:7], 2
	s_lshl_b64 s[26:27], s[30:31], 2
	s_add_nc_u64 s[12:13], s[20:21], s[14:15]
	s_lshl_b64 s[14:15], s[10:11], 2
	s_lshl_b64 s[20:21], s[18:19], 2
	s_branch .LBB5_3
.LBB5_2:                                ;   in Loop: Header=BB5_3 Depth=1
	s_wait_xcnt 0x0
	s_or_b32 exec_lo, exec_lo, s4
	s_add_co_i32 s24, s24, 0x10000
	s_delay_alu instid0(SALU_CYCLE_1)
	s_cmp_lt_u32 s24, s28
	s_cbranch_scc0 .LBB5_21
.LBB5_3:                                ; =>This Loop Header: Depth=1
                                        ;     Child Loop BB5_15 Depth 2
	s_wait_dscnt 0x0
	v_mov_b32_e32 v2, 0
	s_and_saveexec_b32 s4, vcc_lo
	s_cbranch_execnz .LBB5_12
; %bb.4:                                ;   in Loop: Header=BB5_3 Depth=1
	s_or_b32 exec_lo, exec_lo, s4
	s_and_saveexec_b32 s5, s1
	s_cbranch_execnz .LBB5_13
.LBB5_5:                                ;   in Loop: Header=BB5_3 Depth=1
	s_or_b32 exec_lo, exec_lo, s5
	s_and_saveexec_b32 s4, s0
.LBB5_6:                                ;   in Loop: Header=BB5_3 Depth=1
	ds_store_b32 v14, v3
.LBB5_7:                                ;   in Loop: Header=BB5_3 Depth=1
	s_or_b32 exec_lo, exec_lo, s4
	ds_bpermute_b32 v10, v15, v2
	s_wait_dscnt 0x0
	s_barrier_signal -1
	s_barrier_wait -1
	v_add_f32_e32 v2, v2, v10
	ds_bpermute_b32 v10, v1, v2
	s_wait_dscnt 0x0
	v_add_f32_e32 v2, v2, v10
	ds_bpermute_b32 v10, v16, v2
	s_wait_dscnt 0x0
	;; [unrolled: 3-line block ×3, first 2 shown]
	v_add_f32_e32 v2, v2, v10
	ds_bpermute_b32 v10, v18, v2
	s_and_saveexec_b32 s4, s2
	s_cbranch_execz .LBB5_9
; %bb.8:                                ;   in Loop: Header=BB5_3 Depth=1
	s_wait_dscnt 0x0
	v_add_f32_e32 v2, v2, v10
	ds_store_b32 v19, v2
.LBB5_9:                                ;   in Loop: Header=BB5_3 Depth=1
	s_or_b32 exec_lo, exec_lo, s4
	v_mov_b32_e32 v2, 0
	s_wait_dscnt 0x0
	s_barrier_signal -1
	s_barrier_wait -1
	s_and_saveexec_b32 s4, s3
	s_cbranch_execnz .LBB5_17
; %bb.10:                               ;   in Loop: Header=BB5_3 Depth=1
	s_or_b32 exec_lo, exec_lo, s4
	s_and_saveexec_b32 s4, s0
	s_cbranch_execnz .LBB5_18
.LBB5_11:                               ;   in Loop: Header=BB5_3 Depth=1
	s_or_b32 exec_lo, exec_lo, s4
	s_and_saveexec_b32 s4, vcc_lo
	s_cbranch_execz .LBB5_2
	s_branch .LBB5_19
.LBB5_12:                               ;   in Loop: Header=BB5_3 Depth=1
	s_mul_u64 s[30:31], s[10:11], s[24:25]
	s_delay_alu instid0(SALU_CYCLE_1) | instskip(SKIP_1) | instid1(SALU_CYCLE_1)
	v_lshl_add_u64 v[10:11], s[30:31], 2, v[4:5]
	s_mul_u64 s[30:31], s[18:19], s[24:25]
	s_lshl_b64 s[30:31], s[30:31], 2
	s_delay_alu instid0(SALU_CYCLE_1) | instskip(NEXT) | instid1(VALU_DEP_1)
	s_add_nc_u64 s[30:31], s[8:9], s[30:31]
	v_lshl_add_u64 v[10:11], s[6:7], 2, v[10:11]
	s_add_nc_u64 s[30:31], s[30:31], s[26:27]
	global_load_b32 v2, v[10:11], off
	global_load_b32 v12, v3, s[30:31]
	s_wait_loadcnt 0x0
	v_fma_f32 v2, v2, v12, 0
	s_wait_xcnt 0x0
	s_or_b32 exec_lo, exec_lo, s4
	s_and_saveexec_b32 s5, s1
	s_cbranch_execz .LBB5_5
.LBB5_13:                               ;   in Loop: Header=BB5_3 Depth=1
	v_mad_nc_u64_u32 v[10:11], s14, s24, v[6:7]
	v_mad_nc_u64_u32 v[12:13], s20, s24, v[8:9]
	v_mov_b32_e32 v20, v0
	s_mov_b32 s30, 0
	s_delay_alu instid0(VALU_DEP_3) | instskip(NEXT) | instid1(VALU_DEP_3)
	v_mad_u32 v11, s15, s24, v11
	v_mad_u32 v13, s21, s24, v13
	s_branch .LBB5_15
.LBB5_14:                               ;   in Loop: Header=BB5_15 Depth=2
	s_wait_xcnt 0x0
	s_or_b32 exec_lo, exec_lo, s31
	v_add_nc_u32_e32 v20, 0x200, v20
	s_delay_alu instid0(VALU_DEP_4) | instskip(NEXT) | instid1(VALU_DEP_4)
	v_add_nc_u64_e32 v[10:11], 0x800, v[10:11]
	v_add_nc_u64_e32 v[12:13], s[16:17], v[12:13]
	s_delay_alu instid0(VALU_DEP_3) | instskip(SKIP_1) | instid1(SALU_CYCLE_1)
	v_cmp_le_i32_e64 s4, s29, v20
	s_or_b32 s30, s4, s30
	s_and_not1_b32 exec_lo, exec_lo, s30
	s_cbranch_execz .LBB5_20
.LBB5_15:                               ;   Parent Loop BB5_3 Depth=1
                                        ; =>  This Inner Loop Header: Depth=2
	s_mov_b32 s31, exec_lo
	v_cmpx_gt_i32_e64 s6, v20
	s_cbranch_execz .LBB5_14
; %bb.16:                               ;   in Loop: Header=BB5_15 Depth=2
	global_load_b32 v21, v[10:11], off
	global_load_b32 v22, v[12:13], off
	s_wait_loadcnt 0x0
	v_fmac_f32_e32 v2, v21, v22
	s_branch .LBB5_14
.LBB5_17:                               ;   in Loop: Header=BB5_3 Depth=1
	ds_load_b32 v2, v14
	s_or_b32 exec_lo, exec_lo, s4
	s_and_saveexec_b32 s4, s0
	s_cbranch_execz .LBB5_11
.LBB5_18:                               ;   in Loop: Header=BB5_3 Depth=1
	s_wait_dscnt 0x0
	ds_bpermute_b32 v10, v1, v2
	s_wait_dscnt 0x0
	v_add_f32_e32 v2, v2, v10
	ds_bpermute_b32 v10, v16, v2
	s_wait_dscnt 0x0
	v_add_f32_e32 v2, v2, v10
	;; [unrolled: 3-line block ×4, first 2 shown]
	s_or_b32 exec_lo, exec_lo, s4
	s_and_saveexec_b32 s4, vcc_lo
	s_cbranch_execz .LBB5_2
.LBB5_19:                               ;   in Loop: Header=BB5_3 Depth=1
	s_mul_u64 s[30:31], s[22:23], s[24:25]
	s_delay_alu instid0(SALU_CYCLE_1) | instskip(NEXT) | instid1(SALU_CYCLE_1)
	s_lshl_b64 s[30:31], s[30:31], 2
	s_add_nc_u64 s[30:31], s[12:13], s[30:31]
	s_wait_dscnt 0x0
	global_store_b32 v3, v2, s[30:31]
	s_branch .LBB5_2
.LBB5_20:                               ;   in Loop: Header=BB5_3 Depth=1
	s_or_b32 exec_lo, exec_lo, s30
	s_delay_alu instid0(SALU_CYCLE_1)
	s_or_b32 exec_lo, exec_lo, s5
	s_and_saveexec_b32 s4, s0
	s_cbranch_execnz .LBB5_6
	s_branch .LBB5_7
.LBB5_21:
	s_endpgm
	.section	.rodata,"a",@progbits
	.p2align	6, 0x0
	.amdhsa_kernel _ZL20rocblas_trmvt_kernelILi512ELb0ELb1ELb0EPKfPfS2_EviT3_lllT4_lllT5_li
		.amdhsa_group_segment_fixed_size 128
		.amdhsa_private_segment_fixed_size 0
		.amdhsa_kernarg_size 92
		.amdhsa_user_sgpr_count 2
		.amdhsa_user_sgpr_dispatch_ptr 0
		.amdhsa_user_sgpr_queue_ptr 0
		.amdhsa_user_sgpr_kernarg_segment_ptr 1
		.amdhsa_user_sgpr_dispatch_id 0
		.amdhsa_user_sgpr_kernarg_preload_length 0
		.amdhsa_user_sgpr_kernarg_preload_offset 0
		.amdhsa_user_sgpr_private_segment_size 0
		.amdhsa_wavefront_size32 1
		.amdhsa_uses_dynamic_stack 0
		.amdhsa_enable_private_segment 0
		.amdhsa_system_sgpr_workgroup_id_x 1
		.amdhsa_system_sgpr_workgroup_id_y 0
		.amdhsa_system_sgpr_workgroup_id_z 1
		.amdhsa_system_sgpr_workgroup_info 0
		.amdhsa_system_vgpr_workitem_id 0
		.amdhsa_next_free_vgpr 23
		.amdhsa_next_free_sgpr 32
		.amdhsa_named_barrier_count 0
		.amdhsa_reserve_vcc 1
		.amdhsa_float_round_mode_32 0
		.amdhsa_float_round_mode_16_64 0
		.amdhsa_float_denorm_mode_32 3
		.amdhsa_float_denorm_mode_16_64 3
		.amdhsa_fp16_overflow 0
		.amdhsa_memory_ordered 1
		.amdhsa_forward_progress 1
		.amdhsa_inst_pref_size 9
		.amdhsa_round_robin_scheduling 0
		.amdhsa_exception_fp_ieee_invalid_op 0
		.amdhsa_exception_fp_denorm_src 0
		.amdhsa_exception_fp_ieee_div_zero 0
		.amdhsa_exception_fp_ieee_overflow 0
		.amdhsa_exception_fp_ieee_underflow 0
		.amdhsa_exception_fp_ieee_inexact 0
		.amdhsa_exception_int_div_zero 0
	.end_amdhsa_kernel
	.section	.text._ZL20rocblas_trmvt_kernelILi512ELb0ELb1ELb0EPKfPfS2_EviT3_lllT4_lllT5_li,"axG",@progbits,_ZL20rocblas_trmvt_kernelILi512ELb0ELb1ELb0EPKfPfS2_EviT3_lllT4_lllT5_li,comdat
.Lfunc_end5:
	.size	_ZL20rocblas_trmvt_kernelILi512ELb0ELb1ELb0EPKfPfS2_EviT3_lllT4_lllT5_li, .Lfunc_end5-_ZL20rocblas_trmvt_kernelILi512ELb0ELb1ELb0EPKfPfS2_EviT3_lllT4_lllT5_li
                                        ; -- End function
	.set _ZL20rocblas_trmvt_kernelILi512ELb0ELb1ELb0EPKfPfS2_EviT3_lllT4_lllT5_li.num_vgpr, 23
	.set _ZL20rocblas_trmvt_kernelILi512ELb0ELb1ELb0EPKfPfS2_EviT3_lllT4_lllT5_li.num_agpr, 0
	.set _ZL20rocblas_trmvt_kernelILi512ELb0ELb1ELb0EPKfPfS2_EviT3_lllT4_lllT5_li.numbered_sgpr, 32
	.set _ZL20rocblas_trmvt_kernelILi512ELb0ELb1ELb0EPKfPfS2_EviT3_lllT4_lllT5_li.num_named_barrier, 0
	.set _ZL20rocblas_trmvt_kernelILi512ELb0ELb1ELb0EPKfPfS2_EviT3_lllT4_lllT5_li.private_seg_size, 0
	.set _ZL20rocblas_trmvt_kernelILi512ELb0ELb1ELb0EPKfPfS2_EviT3_lllT4_lllT5_li.uses_vcc, 1
	.set _ZL20rocblas_trmvt_kernelILi512ELb0ELb1ELb0EPKfPfS2_EviT3_lllT4_lllT5_li.uses_flat_scratch, 0
	.set _ZL20rocblas_trmvt_kernelILi512ELb0ELb1ELb0EPKfPfS2_EviT3_lllT4_lllT5_li.has_dyn_sized_stack, 0
	.set _ZL20rocblas_trmvt_kernelILi512ELb0ELb1ELb0EPKfPfS2_EviT3_lllT4_lllT5_li.has_recursion, 0
	.set _ZL20rocblas_trmvt_kernelILi512ELb0ELb1ELb0EPKfPfS2_EviT3_lllT4_lllT5_li.has_indirect_call, 0
	.section	.AMDGPU.csdata,"",@progbits
; Kernel info:
; codeLenInByte = 1068
; TotalNumSgprs: 34
; NumVgprs: 23
; ScratchSize: 0
; MemoryBound: 0
; FloatMode: 240
; IeeeMode: 1
; LDSByteSize: 128 bytes/workgroup (compile time only)
; SGPRBlocks: 0
; VGPRBlocks: 1
; NumSGPRsForWavesPerEU: 34
; NumVGPRsForWavesPerEU: 23
; NamedBarCnt: 0
; Occupancy: 16
; WaveLimiterHint : 0
; COMPUTE_PGM_RSRC2:SCRATCH_EN: 0
; COMPUTE_PGM_RSRC2:USER_SGPR: 2
; COMPUTE_PGM_RSRC2:TRAP_HANDLER: 0
; COMPUTE_PGM_RSRC2:TGID_X_EN: 1
; COMPUTE_PGM_RSRC2:TGID_Y_EN: 0
; COMPUTE_PGM_RSRC2:TGID_Z_EN: 1
; COMPUTE_PGM_RSRC2:TIDIG_COMP_CNT: 0
	.section	.text._ZL20rocblas_trmvn_kernelILi64ELi16ELb1ELb1EPKfPfS2_EviT3_lllT4_lllT5_li,"axG",@progbits,_ZL20rocblas_trmvn_kernelILi64ELi16ELb1ELb1EPKfPfS2_EviT3_lllT4_lllT5_li,comdat
	.globl	_ZL20rocblas_trmvn_kernelILi64ELi16ELb1ELb1EPKfPfS2_EviT3_lllT4_lllT5_li ; -- Begin function _ZL20rocblas_trmvn_kernelILi64ELi16ELb1ELb1EPKfPfS2_EviT3_lllT4_lllT5_li
	.p2align	8
	.type	_ZL20rocblas_trmvn_kernelILi64ELi16ELb1ELb1EPKfPfS2_EviT3_lllT4_lllT5_li,@function
_ZL20rocblas_trmvn_kernelILi64ELi16ELb1ELb1EPKfPfS2_EviT3_lllT4_lllT5_li: ; @_ZL20rocblas_trmvn_kernelILi64ELi16ELb1ELb1EPKfPfS2_EviT3_lllT4_lllT5_li
; %bb.0:
	s_load_b32 s3, s[0:1], 0x58
	s_bfe_u32 s2, ttmp6, 0x40014
	s_lshr_b32 s4, ttmp7, 16
	s_add_co_i32 s2, s2, 1
	s_bfe_u32 s6, ttmp6, 0x40008
	s_mul_i32 s5, s4, s2
	s_getreg_b32 s2, hwreg(HW_REG_IB_STS2, 6, 4)
	s_add_co_i32 s6, s6, s5
	s_cmp_eq_u32 s2, 0
	s_mov_b32 s25, 0
	s_cselect_b32 s24, s4, s6
	s_wait_kmcnt 0x0
	s_cmp_ge_u32 s24, s3
	s_cbranch_scc1 .LBB6_14
; %bb.1:
	s_clause 0x1
	s_load_b512 s[4:19], s[0:1], 0x8
	s_load_b32 s20, s[0:1], 0x6c
	s_bfe_u32 s21, ttmp6, 0x4000c
	v_and_b32_e32 v12, 0x3ff, v0
	s_add_co_i32 s21, s21, 1
	v_bfe_u32 v2, v0, 10, 10
	s_delay_alu instid0(VALU_DEP_1)
	v_dual_lshlrev_b32 v14, 2, v12 :: v_dual_lshlrev_b32 v15, 8, v2
	s_wait_kmcnt 0x0
	s_lshl_b64 s[26:27], s[14:15], 2
	s_and_b32 s15, s20, 0xffff
	s_and_b32 s14, ttmp6, 15
	s_mul_i32 s20, ttmp9, s21
	s_delay_alu instid0(SALU_CYCLE_1)
	s_add_co_i32 s14, s14, s20
	s_cmp_eq_u32 s2, 0
	s_load_b128 s[20:23], s[0:1], 0x48
	s_cselect_b32 s2, ttmp9, s14
	s_load_b32 s14, s[0:1], 0x0
	v_lshl_add_u32 v0, s2, 6, v12
	v_mov_b32_e32 v3, 0
	s_lshl_b64 s[28:29], s[6:7], 2
	s_wait_xcnt 0x0
	v_cmp_eq_u32_e64 s0, 0, v2
	s_add_nc_u64 s[6:7], s[12:13], s[26:27]
	v_ashrrev_i32_e32 v1, 31, v0
	v_mul_u64_e32 v[6:7], s[8:9], v[2:3]
	v_mul_u64_e32 v[8:9], s[16:17], v[2:3]
	v_mad_u32_u24 v3, v2, s15, v12
	s_lshl_b64 s[12:13], s[16:17], 6
	v_mul_u64_e32 v[4:5], s[16:17], v[0:1]
	v_lshlrev_b64_e32 v[10:11], 2, v[0:1]
	v_mul_u32_u24_e32 v1, s15, v2
	v_cmp_gt_u32_e64 s1, 64, v3
	v_add_nc_u32_e32 v3, v14, v15
	s_lshl_b64 s[10:11], s[10:11], 2
	s_lshl_b64 s[8:9], s[8:9], 6
	v_lshl_add_u32 v1, v1, 2, v14
	s_wait_kmcnt 0x0
	v_cmp_gt_i32_e32 vcc_lo, s14, v0
	s_and_b32 s15, s0, vcc_lo
	v_cmp_gt_i32_e64 s0, s14, v2
	v_lshl_add_u64 v[6:7], v[6:7], 2, s[28:29]
	v_lshl_add_u64 v[8:9], v[8:9], 2, s[6:7]
	s_delay_alu instid0(VALU_DEP_2) | instskip(SKIP_1) | instid1(VALU_DEP_2)
	v_add_nc_u64_e32 v[12:13], v[6:7], v[10:11]
	v_add_nc_u64_e32 v[6:7], s[20:21], v[10:11]
	;; [unrolled: 1-line block ×3, first 2 shown]
	s_lshl_b64 s[4:5], s[18:19], 2
	s_branch .LBB6_3
.LBB6_2:                                ;   in Loop: Header=BB6_3 Depth=1
	s_wait_xcnt 0x0
	s_or_b32 exec_lo, exec_lo, s2
	s_add_co_i32 s24, s24, 0x10000
	s_delay_alu instid0(SALU_CYCLE_1)
	s_cmp_lt_u32 s24, s3
	s_cbranch_scc0 .LBB6_14
.LBB6_3:                                ; =>This Loop Header: Depth=1
                                        ;     Child Loop BB6_8 Depth 2
	v_mov_b32_e32 v16, 0
	s_and_saveexec_b32 s2, s15
	s_cbranch_execz .LBB6_5
; %bb.4:                                ;   in Loop: Header=BB6_3 Depth=1
	s_mul_u64 s[16:17], s[18:19], s[24:25]
	s_delay_alu instid0(SALU_CYCLE_1) | instskip(NEXT) | instid1(SALU_CYCLE_1)
	s_lshl_b64 s[16:17], s[16:17], 2
	s_add_nc_u64 s[16:17], s[6:7], s[16:17]
	s_delay_alu instid0(SALU_CYCLE_1)
	v_lshl_add_u64 v[12:13], v[4:5], 2, s[16:17]
	global_load_b32 v16, v[12:13], off
.LBB6_5:                                ;   in Loop: Header=BB6_3 Depth=1
	s_wait_xcnt 0x0
	s_or_b32 exec_lo, exec_lo, s2
	s_and_saveexec_b32 s16, s0
	s_cbranch_execz .LBB6_11
; %bb.6:                                ;   in Loop: Header=BB6_3 Depth=1
	v_mad_nc_u64_u32 v[12:13], s4, s24, v[8:9]
	v_mad_nc_u64_u32 v[14:15], s10, s24, v[10:11]
	v_mov_b32_e32 v17, v2
	s_mov_b32 s17, 0
	s_delay_alu instid0(VALU_DEP_3) | instskip(NEXT) | instid1(VALU_DEP_3)
	v_mad_u32 v13, s5, s24, v13
	v_mad_u32 v15, s11, s24, v15
	s_branch .LBB6_8
.LBB6_7:                                ;   in Loop: Header=BB6_8 Depth=2
	s_wait_xcnt 0x0
	s_or_b32 exec_lo, exec_lo, s2
	v_add_nc_u32_e32 v17, 16, v17
	v_add_nc_u64_e32 v[12:13], s[12:13], v[12:13]
	v_add_nc_u64_e32 v[14:15], s[8:9], v[14:15]
	s_delay_alu instid0(VALU_DEP_3) | instskip(SKIP_1) | instid1(SALU_CYCLE_1)
	v_cmp_le_i32_e64 s2, s14, v17
	s_or_b32 s17, s2, s17
	s_and_not1_b32 exec_lo, exec_lo, s17
	s_cbranch_execz .LBB6_10
.LBB6_8:                                ;   Parent Loop BB6_3 Depth=1
                                        ; =>  This Inner Loop Header: Depth=2
	v_cmp_lt_i32_e64 s2, v17, v0
	s_and_b32 s20, vcc_lo, s2
	s_delay_alu instid0(SALU_CYCLE_1)
	s_and_saveexec_b32 s2, s20
	s_cbranch_execz .LBB6_7
; %bb.9:                                ;   in Loop: Header=BB6_8 Depth=2
	global_load_b32 v18, v[14:15], off
	global_load_b32 v19, v[12:13], off
	s_wait_loadcnt 0x0
	v_fmac_f32_e32 v16, v18, v19
	s_branch .LBB6_7
.LBB6_10:                               ;   in Loop: Header=BB6_3 Depth=1
	s_or_b32 exec_lo, exec_lo, s17
.LBB6_11:                               ;   in Loop: Header=BB6_3 Depth=1
	s_delay_alu instid0(SALU_CYCLE_1)
	s_or_b32 exec_lo, exec_lo, s16
	s_wait_loadcnt 0x0
	ds_store_b32 v3, v16
	s_wait_dscnt 0x0
	s_barrier_signal -1
	s_barrier_wait -1
	s_and_saveexec_b32 s2, s1
	s_cbranch_execz .LBB6_2
; %bb.12:                               ;   in Loop: Header=BB6_3 Depth=1
	ds_load_2addr_stride64_b32 v[12:13], v1 offset1:1
	ds_load_2addr_stride64_b32 v[14:15], v1 offset0:2 offset1:3
	ds_load_2addr_stride64_b32 v[16:17], v1 offset0:4 offset1:5
	;; [unrolled: 1-line block ×3, first 2 shown]
	s_wait_dscnt 0x3
	v_add_f32_e32 v12, v12, v13
	s_wait_dscnt 0x2
	s_delay_alu instid0(VALU_DEP_1) | instskip(NEXT) | instid1(VALU_DEP_1)
	v_add_f32_e32 v12, v14, v12
	v_add_f32_e32 v12, v15, v12
	s_wait_dscnt 0x1
	s_delay_alu instid0(VALU_DEP_1) | instskip(SKIP_3) | instid1(VALU_DEP_1)
	v_add_f32_e32 v14, v16, v12
	ds_load_2addr_stride64_b32 v[12:13], v1 offset0:8 offset1:9
	v_add_f32_e32 v14, v17, v14
	s_wait_dscnt 0x1
	v_add_f32_e32 v16, v18, v14
	ds_load_2addr_stride64_b32 v[14:15], v1 offset0:10 offset1:11
	v_add_f32_e32 v20, v19, v16
	ds_load_2addr_stride64_b32 v[16:17], v1 offset0:12 offset1:13
	ds_load_2addr_stride64_b32 v[18:19], v1 offset0:14 offset1:15
	s_wait_dscnt 0x3
	v_add_f32_e32 v12, v12, v20
	s_delay_alu instid0(VALU_DEP_1) | instskip(SKIP_1) | instid1(VALU_DEP_1)
	v_add_f32_e32 v12, v13, v12
	s_wait_dscnt 0x2
	v_add_f32_e32 v12, v14, v12
	s_delay_alu instid0(VALU_DEP_1) | instskip(SKIP_1) | instid1(VALU_DEP_1)
	v_add_f32_e32 v12, v15, v12
	;; [unrolled: 4-line block ×3, first 2 shown]
	s_wait_dscnt 0x0
	v_add_f32_e32 v12, v18, v12
	s_delay_alu instid0(VALU_DEP_1)
	v_add_f32_e32 v12, v19, v12
	ds_store_b32 v1, v12
	s_and_b32 exec_lo, exec_lo, vcc_lo
	s_cbranch_execz .LBB6_2
; %bb.13:                               ;   in Loop: Header=BB6_3 Depth=1
	s_mul_u64 s[16:17], s[22:23], s[24:25]
	s_delay_alu instid0(SALU_CYCLE_1)
	v_lshl_add_u64 v[14:15], s[16:17], 2, v[6:7]
	global_store_b32 v[14:15], v12, off
	s_branch .LBB6_2
.LBB6_14:
	s_endpgm
	.section	.rodata,"a",@progbits
	.p2align	6, 0x0
	.amdhsa_kernel _ZL20rocblas_trmvn_kernelILi64ELi16ELb1ELb1EPKfPfS2_EviT3_lllT4_lllT5_li
		.amdhsa_group_segment_fixed_size 4096
		.amdhsa_private_segment_fixed_size 0
		.amdhsa_kernarg_size 352
		.amdhsa_user_sgpr_count 2
		.amdhsa_user_sgpr_dispatch_ptr 0
		.amdhsa_user_sgpr_queue_ptr 0
		.amdhsa_user_sgpr_kernarg_segment_ptr 1
		.amdhsa_user_sgpr_dispatch_id 0
		.amdhsa_user_sgpr_kernarg_preload_length 0
		.amdhsa_user_sgpr_kernarg_preload_offset 0
		.amdhsa_user_sgpr_private_segment_size 0
		.amdhsa_wavefront_size32 1
		.amdhsa_uses_dynamic_stack 0
		.amdhsa_enable_private_segment 0
		.amdhsa_system_sgpr_workgroup_id_x 1
		.amdhsa_system_sgpr_workgroup_id_y 0
		.amdhsa_system_sgpr_workgroup_id_z 1
		.amdhsa_system_sgpr_workgroup_info 0
		.amdhsa_system_vgpr_workitem_id 1
		.amdhsa_next_free_vgpr 21
		.amdhsa_next_free_sgpr 30
		.amdhsa_named_barrier_count 0
		.amdhsa_reserve_vcc 1
		.amdhsa_float_round_mode_32 0
		.amdhsa_float_round_mode_16_64 0
		.amdhsa_float_denorm_mode_32 3
		.amdhsa_float_denorm_mode_16_64 3
		.amdhsa_fp16_overflow 0
		.amdhsa_memory_ordered 1
		.amdhsa_forward_progress 1
		.amdhsa_inst_pref_size 7
		.amdhsa_round_robin_scheduling 0
		.amdhsa_exception_fp_ieee_invalid_op 0
		.amdhsa_exception_fp_denorm_src 0
		.amdhsa_exception_fp_ieee_div_zero 0
		.amdhsa_exception_fp_ieee_overflow 0
		.amdhsa_exception_fp_ieee_underflow 0
		.amdhsa_exception_fp_ieee_inexact 0
		.amdhsa_exception_int_div_zero 0
	.end_amdhsa_kernel
	.section	.text._ZL20rocblas_trmvn_kernelILi64ELi16ELb1ELb1EPKfPfS2_EviT3_lllT4_lllT5_li,"axG",@progbits,_ZL20rocblas_trmvn_kernelILi64ELi16ELb1ELb1EPKfPfS2_EviT3_lllT4_lllT5_li,comdat
.Lfunc_end6:
	.size	_ZL20rocblas_trmvn_kernelILi64ELi16ELb1ELb1EPKfPfS2_EviT3_lllT4_lllT5_li, .Lfunc_end6-_ZL20rocblas_trmvn_kernelILi64ELi16ELb1ELb1EPKfPfS2_EviT3_lllT4_lllT5_li
                                        ; -- End function
	.set _ZL20rocblas_trmvn_kernelILi64ELi16ELb1ELb1EPKfPfS2_EviT3_lllT4_lllT5_li.num_vgpr, 21
	.set _ZL20rocblas_trmvn_kernelILi64ELi16ELb1ELb1EPKfPfS2_EviT3_lllT4_lllT5_li.num_agpr, 0
	.set _ZL20rocblas_trmvn_kernelILi64ELi16ELb1ELb1EPKfPfS2_EviT3_lllT4_lllT5_li.numbered_sgpr, 30
	.set _ZL20rocblas_trmvn_kernelILi64ELi16ELb1ELb1EPKfPfS2_EviT3_lllT4_lllT5_li.num_named_barrier, 0
	.set _ZL20rocblas_trmvn_kernelILi64ELi16ELb1ELb1EPKfPfS2_EviT3_lllT4_lllT5_li.private_seg_size, 0
	.set _ZL20rocblas_trmvn_kernelILi64ELi16ELb1ELb1EPKfPfS2_EviT3_lllT4_lllT5_li.uses_vcc, 1
	.set _ZL20rocblas_trmvn_kernelILi64ELi16ELb1ELb1EPKfPfS2_EviT3_lllT4_lllT5_li.uses_flat_scratch, 0
	.set _ZL20rocblas_trmvn_kernelILi64ELi16ELb1ELb1EPKfPfS2_EviT3_lllT4_lllT5_li.has_dyn_sized_stack, 0
	.set _ZL20rocblas_trmvn_kernelILi64ELi16ELb1ELb1EPKfPfS2_EviT3_lllT4_lllT5_li.has_recursion, 0
	.set _ZL20rocblas_trmvn_kernelILi64ELi16ELb1ELb1EPKfPfS2_EviT3_lllT4_lllT5_li.has_indirect_call, 0
	.section	.AMDGPU.csdata,"",@progbits
; Kernel info:
; codeLenInByte = 868
; TotalNumSgprs: 32
; NumVgprs: 21
; ScratchSize: 0
; MemoryBound: 0
; FloatMode: 240
; IeeeMode: 1
; LDSByteSize: 4096 bytes/workgroup (compile time only)
; SGPRBlocks: 0
; VGPRBlocks: 1
; NumSGPRsForWavesPerEU: 32
; NumVGPRsForWavesPerEU: 21
; NamedBarCnt: 0
; Occupancy: 16
; WaveLimiterHint : 0
; COMPUTE_PGM_RSRC2:SCRATCH_EN: 0
; COMPUTE_PGM_RSRC2:USER_SGPR: 2
; COMPUTE_PGM_RSRC2:TRAP_HANDLER: 0
; COMPUTE_PGM_RSRC2:TGID_X_EN: 1
; COMPUTE_PGM_RSRC2:TGID_Y_EN: 0
; COMPUTE_PGM_RSRC2:TGID_Z_EN: 1
; COMPUTE_PGM_RSRC2:TIDIG_COMP_CNT: 1
	.section	.text._ZL20rocblas_trmvt_kernelILi512ELb1ELb0ELb1EPKfPfS2_EviT3_lllT4_lllT5_li,"axG",@progbits,_ZL20rocblas_trmvt_kernelILi512ELb1ELb0ELb1EPKfPfS2_EviT3_lllT4_lllT5_li,comdat
	.globl	_ZL20rocblas_trmvt_kernelILi512ELb1ELb0ELb1EPKfPfS2_EviT3_lllT4_lllT5_li ; -- Begin function _ZL20rocblas_trmvt_kernelILi512ELb1ELb0ELb1EPKfPfS2_EviT3_lllT4_lllT5_li
	.p2align	8
	.type	_ZL20rocblas_trmvt_kernelILi512ELb1ELb0ELb1EPKfPfS2_EviT3_lllT4_lllT5_li,@function
_ZL20rocblas_trmvt_kernelILi512ELb1ELb0ELb1EPKfPfS2_EviT3_lllT4_lllT5_li: ; @_ZL20rocblas_trmvt_kernelILi512ELb1ELb0ELb1EPKfPfS2_EviT3_lllT4_lllT5_li
; %bb.0:
	s_load_b32 s26, s[0:1], 0x58
	s_bfe_u32 s2, ttmp6, 0x40014
	s_lshr_b32 s3, ttmp7, 16
	s_add_co_i32 s2, s2, 1
	s_bfe_u32 s5, ttmp6, 0x40008
	s_mul_i32 s4, s3, s2
	s_getreg_b32 s2, hwreg(HW_REG_IB_STS2, 6, 4)
	s_add_co_i32 s5, s5, s4
	s_cmp_eq_u32 s2, 0
	s_mov_b32 s25, 0
	s_cselect_b32 s24, s3, s5
	s_wait_kmcnt 0x0
	s_cmp_ge_u32 s24, s26
	s_cbranch_scc1 .LBB7_21
; %bb.1:
	s_clause 0x2
	s_load_b512 s[4:19], s[0:1], 0x8
	s_load_b32 s27, s[0:1], 0x0
	s_load_b128 s[20:23], s[0:1], 0x48
	v_dual_mov_b32 v3, 0 :: v_dual_bitop2_b32 v2, 31, v0 bitop3:0x40
	s_wait_xcnt 0x0
	s_bfe_u32 s0, ttmp6, 0x4000c
	v_mbcnt_lo_u32_b32 v4, -1, 0
	s_add_co_i32 s1, s0, 1
	v_dual_mov_b32 v1, v3 :: v_dual_lshlrev_b32 v12, 2, v2
	s_and_b32 s3, ttmp6, 15
	s_mul_i32 s28, ttmp9, s1
	v_cmp_gt_u32_e64 s1, 24, v4
	s_add_co_i32 s3, s3, s28
	v_lshl_or_b32 v13, v4, 2, 64
	v_cmp_gt_u32_e64 s0, 32, v0
	v_cmp_eq_u32_e32 vcc_lo, 0, v0
	v_cndmask_b32_e64 v5, 0, 8, s1
	s_wait_kmcnt 0x0
	v_mul_u64_e32 v[6:7], s[16:17], v[0:1]
	s_lshl_b64 s[28:29], s[14:15], 2
	s_cmp_eq_u32 s2, 0
	v_cmp_gt_u32_e64 s2, 28, v4
	v_cmp_gt_i32_e64 s1, s27, v0
	s_cselect_b32 s14, ttmp9, s3
	s_lshl_b64 s[6:7], s[6:7], 2
	s_ashr_i32 s15, s14, 31
	v_cndmask_b32_e64 v9, 0, 4, s2
	v_cmp_gt_u32_e64 s2, 30, v4
	v_cndmask_b32_e64 v8, 0, v0, s1
	s_mul_u64 s[8:9], s[8:9], s[14:15]
	v_add_lshl_u32 v1, v5, v4, 2
	s_lshl_b64 s[8:9], s[8:9], 2
	v_cndmask_b32_e64 v10, 0, 2, s2
	v_cmp_ne_u32_e64 s2, 31, v4
	v_lshrrev_b32_e32 v5, 3, v0
	s_add_nc_u64 s[6:7], s[8:9], s[6:7]
	s_add_nc_u64 s[12:13], s[12:13], s[28:29]
	;; [unrolled: 1-line block ×3, first 2 shown]
	v_add_co_ci_u32_e64 v11, null, 0, v4, s2
	v_cmp_eq_u32_e64 s2, 0, v2
	v_lshlrev_b32_e32 v2, 2, v8
	v_add_lshl_u32 v14, v9, v4, 2
	v_add_lshl_u32 v15, v10, v4, 2
	v_dual_lshlrev_b32 v16, 2, v11 :: v_dual_bitop2_b32 v17, 60, v5 bitop3:0x40
	s_delay_alu instid0(VALU_DEP_4)
	v_add_nc_u64_e32 v[4:5], s[4:5], v[2:3]
	v_cmp_gt_u32_e64 s3, 16, v0
	s_mul_u64 s[28:29], s[16:17], s[14:15]
	s_lshl_b64 s[8:9], s[14:15], 2
	v_lshl_add_u64 v[6:7], v[6:7], 2, s[12:13]
	s_add_nc_u64 s[6:7], s[20:21], s[8:9]
	s_lshl_b64 s[8:9], s[10:11], 2
	s_lshl_b64 s[10:11], s[18:19], 2
	;; [unrolled: 1-line block ×4, first 2 shown]
	s_branch .LBB7_3
.LBB7_2:                                ;   in Loop: Header=BB7_3 Depth=1
	s_wait_xcnt 0x0
	s_or_b32 exec_lo, exec_lo, s4
	s_add_co_i32 s24, s24, 0x10000
	s_delay_alu instid0(SALU_CYCLE_1)
	s_cmp_lt_u32 s24, s26
	s_cbranch_scc0 .LBB7_21
.LBB7_3:                                ; =>This Loop Header: Depth=1
                                        ;     Child Loop BB7_15 Depth 2
	s_wait_dscnt 0x0
	v_mov_b32_e32 v2, 0
	s_and_saveexec_b32 s4, vcc_lo
	s_cbranch_execnz .LBB7_12
; %bb.4:                                ;   in Loop: Header=BB7_3 Depth=1
	s_or_b32 exec_lo, exec_lo, s4
	s_and_saveexec_b32 s5, s1
	s_cbranch_execnz .LBB7_13
.LBB7_5:                                ;   in Loop: Header=BB7_3 Depth=1
	s_or_b32 exec_lo, exec_lo, s5
	s_and_saveexec_b32 s4, s0
.LBB7_6:                                ;   in Loop: Header=BB7_3 Depth=1
	ds_store_b32 v12, v3
.LBB7_7:                                ;   in Loop: Header=BB7_3 Depth=1
	s_or_b32 exec_lo, exec_lo, s4
	ds_bpermute_b32 v8, v13, v2
	s_wait_dscnt 0x0
	s_barrier_signal -1
	s_barrier_wait -1
	v_add_f32_e32 v2, v2, v8
	ds_bpermute_b32 v8, v1, v2
	s_wait_dscnt 0x0
	v_add_f32_e32 v2, v2, v8
	ds_bpermute_b32 v8, v14, v2
	s_wait_dscnt 0x0
	;; [unrolled: 3-line block ×3, first 2 shown]
	v_add_f32_e32 v2, v2, v8
	ds_bpermute_b32 v8, v16, v2
	s_and_saveexec_b32 s4, s2
	s_cbranch_execz .LBB7_9
; %bb.8:                                ;   in Loop: Header=BB7_3 Depth=1
	s_wait_dscnt 0x0
	v_add_f32_e32 v2, v2, v8
	ds_store_b32 v17, v2
.LBB7_9:                                ;   in Loop: Header=BB7_3 Depth=1
	s_or_b32 exec_lo, exec_lo, s4
	v_mov_b32_e32 v2, 0
	s_wait_dscnt 0x0
	s_barrier_signal -1
	s_barrier_wait -1
	s_and_saveexec_b32 s4, s3
	s_cbranch_execnz .LBB7_17
; %bb.10:                               ;   in Loop: Header=BB7_3 Depth=1
	s_or_b32 exec_lo, exec_lo, s4
	s_and_saveexec_b32 s4, s0
	s_cbranch_execnz .LBB7_18
.LBB7_11:                               ;   in Loop: Header=BB7_3 Depth=1
	s_or_b32 exec_lo, exec_lo, s4
	s_and_saveexec_b32 s4, vcc_lo
	s_cbranch_execz .LBB7_2
	s_branch .LBB7_19
.LBB7_12:                               ;   in Loop: Header=BB7_3 Depth=1
	s_mul_u64 s[28:29], s[18:19], s[24:25]
	s_delay_alu instid0(SALU_CYCLE_1) | instskip(NEXT) | instid1(SALU_CYCLE_1)
	s_lshl_b64 s[28:29], s[28:29], 2
	s_add_nc_u64 s[28:29], s[12:13], s[28:29]
	s_delay_alu instid0(SALU_CYCLE_1)
	s_add_nc_u64 s[28:29], s[28:29], s[20:21]
	global_load_b32 v2, v3, s[28:29]
	s_wait_loadcnt 0x0
	v_add_f32_e32 v2, 0, v2
	s_wait_xcnt 0x0
	s_or_b32 exec_lo, exec_lo, s4
	s_and_saveexec_b32 s5, s1
	s_cbranch_execz .LBB7_5
.LBB7_13:                               ;   in Loop: Header=BB7_3 Depth=1
	v_mad_nc_u64_u32 v[8:9], s8, s24, v[4:5]
	v_mad_nc_u64_u32 v[10:11], s10, s24, v[6:7]
	v_mov_b32_e32 v18, v0
	s_mov_b32 s15, 0
	s_delay_alu instid0(VALU_DEP_3) | instskip(NEXT) | instid1(VALU_DEP_3)
	v_mad_u32 v9, s9, s24, v9
	v_mad_u32 v11, s11, s24, v11
	s_branch .LBB7_15
.LBB7_14:                               ;   in Loop: Header=BB7_15 Depth=2
	s_wait_xcnt 0x0
	s_or_b32 exec_lo, exec_lo, s28
	v_add_nc_u32_e32 v18, 0x200, v18
	s_delay_alu instid0(VALU_DEP_4) | instskip(NEXT) | instid1(VALU_DEP_4)
	v_add_nc_u64_e32 v[8:9], 0x800, v[8:9]
	v_add_nc_u64_e32 v[10:11], s[16:17], v[10:11]
	s_delay_alu instid0(VALU_DEP_3) | instskip(SKIP_1) | instid1(SALU_CYCLE_1)
	v_cmp_le_i32_e64 s4, s27, v18
	s_or_b32 s15, s4, s15
	s_and_not1_b32 exec_lo, exec_lo, s15
	s_cbranch_execz .LBB7_20
.LBB7_15:                               ;   Parent Loop BB7_3 Depth=1
                                        ; =>  This Inner Loop Header: Depth=2
	s_mov_b32 s28, exec_lo
	v_cmpx_lt_i32_e64 s14, v18
	s_cbranch_execz .LBB7_14
; %bb.16:                               ;   in Loop: Header=BB7_15 Depth=2
	global_load_b32 v19, v[8:9], off
	global_load_b32 v20, v[10:11], off
	s_wait_loadcnt 0x0
	v_fmac_f32_e32 v2, v19, v20
	s_branch .LBB7_14
.LBB7_17:                               ;   in Loop: Header=BB7_3 Depth=1
	ds_load_b32 v2, v12
	s_or_b32 exec_lo, exec_lo, s4
	s_and_saveexec_b32 s4, s0
	s_cbranch_execz .LBB7_11
.LBB7_18:                               ;   in Loop: Header=BB7_3 Depth=1
	s_wait_dscnt 0x0
	ds_bpermute_b32 v8, v1, v2
	s_wait_dscnt 0x0
	v_add_f32_e32 v2, v2, v8
	ds_bpermute_b32 v8, v14, v2
	s_wait_dscnt 0x0
	v_add_f32_e32 v2, v2, v8
	;; [unrolled: 3-line block ×4, first 2 shown]
	s_or_b32 exec_lo, exec_lo, s4
	s_and_saveexec_b32 s4, vcc_lo
	s_cbranch_execz .LBB7_2
.LBB7_19:                               ;   in Loop: Header=BB7_3 Depth=1
	s_mul_u64 s[28:29], s[22:23], s[24:25]
	s_delay_alu instid0(SALU_CYCLE_1) | instskip(NEXT) | instid1(SALU_CYCLE_1)
	s_lshl_b64 s[28:29], s[28:29], 2
	s_add_nc_u64 s[28:29], s[6:7], s[28:29]
	s_wait_dscnt 0x0
	global_store_b32 v3, v2, s[28:29]
	s_branch .LBB7_2
.LBB7_20:                               ;   in Loop: Header=BB7_3 Depth=1
	s_or_b32 exec_lo, exec_lo, s15
	s_delay_alu instid0(SALU_CYCLE_1)
	s_or_b32 exec_lo, exec_lo, s5
	s_and_saveexec_b32 s4, s0
	s_cbranch_execnz .LBB7_6
	s_branch .LBB7_7
.LBB7_21:
	s_endpgm
	.section	.rodata,"a",@progbits
	.p2align	6, 0x0
	.amdhsa_kernel _ZL20rocblas_trmvt_kernelILi512ELb1ELb0ELb1EPKfPfS2_EviT3_lllT4_lllT5_li
		.amdhsa_group_segment_fixed_size 128
		.amdhsa_private_segment_fixed_size 0
		.amdhsa_kernarg_size 92
		.amdhsa_user_sgpr_count 2
		.amdhsa_user_sgpr_dispatch_ptr 0
		.amdhsa_user_sgpr_queue_ptr 0
		.amdhsa_user_sgpr_kernarg_segment_ptr 1
		.amdhsa_user_sgpr_dispatch_id 0
		.amdhsa_user_sgpr_kernarg_preload_length 0
		.amdhsa_user_sgpr_kernarg_preload_offset 0
		.amdhsa_user_sgpr_private_segment_size 0
		.amdhsa_wavefront_size32 1
		.amdhsa_uses_dynamic_stack 0
		.amdhsa_enable_private_segment 0
		.amdhsa_system_sgpr_workgroup_id_x 1
		.amdhsa_system_sgpr_workgroup_id_y 0
		.amdhsa_system_sgpr_workgroup_id_z 1
		.amdhsa_system_sgpr_workgroup_info 0
		.amdhsa_system_vgpr_workitem_id 0
		.amdhsa_next_free_vgpr 21
		.amdhsa_next_free_sgpr 30
		.amdhsa_named_barrier_count 0
		.amdhsa_reserve_vcc 1
		.amdhsa_float_round_mode_32 0
		.amdhsa_float_round_mode_16_64 0
		.amdhsa_float_denorm_mode_32 3
		.amdhsa_float_denorm_mode_16_64 3
		.amdhsa_fp16_overflow 0
		.amdhsa_memory_ordered 1
		.amdhsa_forward_progress 1
		.amdhsa_inst_pref_size 8
		.amdhsa_round_robin_scheduling 0
		.amdhsa_exception_fp_ieee_invalid_op 0
		.amdhsa_exception_fp_denorm_src 0
		.amdhsa_exception_fp_ieee_div_zero 0
		.amdhsa_exception_fp_ieee_overflow 0
		.amdhsa_exception_fp_ieee_underflow 0
		.amdhsa_exception_fp_ieee_inexact 0
		.amdhsa_exception_int_div_zero 0
	.end_amdhsa_kernel
	.section	.text._ZL20rocblas_trmvt_kernelILi512ELb1ELb0ELb1EPKfPfS2_EviT3_lllT4_lllT5_li,"axG",@progbits,_ZL20rocblas_trmvt_kernelILi512ELb1ELb0ELb1EPKfPfS2_EviT3_lllT4_lllT5_li,comdat
.Lfunc_end7:
	.size	_ZL20rocblas_trmvt_kernelILi512ELb1ELb0ELb1EPKfPfS2_EviT3_lllT4_lllT5_li, .Lfunc_end7-_ZL20rocblas_trmvt_kernelILi512ELb1ELb0ELb1EPKfPfS2_EviT3_lllT4_lllT5_li
                                        ; -- End function
	.set _ZL20rocblas_trmvt_kernelILi512ELb1ELb0ELb1EPKfPfS2_EviT3_lllT4_lllT5_li.num_vgpr, 21
	.set _ZL20rocblas_trmvt_kernelILi512ELb1ELb0ELb1EPKfPfS2_EviT3_lllT4_lllT5_li.num_agpr, 0
	.set _ZL20rocblas_trmvt_kernelILi512ELb1ELb0ELb1EPKfPfS2_EviT3_lllT4_lllT5_li.numbered_sgpr, 30
	.set _ZL20rocblas_trmvt_kernelILi512ELb1ELb0ELb1EPKfPfS2_EviT3_lllT4_lllT5_li.num_named_barrier, 0
	.set _ZL20rocblas_trmvt_kernelILi512ELb1ELb0ELb1EPKfPfS2_EviT3_lllT4_lllT5_li.private_seg_size, 0
	.set _ZL20rocblas_trmvt_kernelILi512ELb1ELb0ELb1EPKfPfS2_EviT3_lllT4_lllT5_li.uses_vcc, 1
	.set _ZL20rocblas_trmvt_kernelILi512ELb1ELb0ELb1EPKfPfS2_EviT3_lllT4_lllT5_li.uses_flat_scratch, 0
	.set _ZL20rocblas_trmvt_kernelILi512ELb1ELb0ELb1EPKfPfS2_EviT3_lllT4_lllT5_li.has_dyn_sized_stack, 0
	.set _ZL20rocblas_trmvt_kernelILi512ELb1ELb0ELb1EPKfPfS2_EviT3_lllT4_lllT5_li.has_recursion, 0
	.set _ZL20rocblas_trmvt_kernelILi512ELb1ELb0ELb1EPKfPfS2_EviT3_lllT4_lllT5_li.has_indirect_call, 0
	.section	.AMDGPU.csdata,"",@progbits
; Kernel info:
; codeLenInByte = 1024
; TotalNumSgprs: 32
; NumVgprs: 21
; ScratchSize: 0
; MemoryBound: 0
; FloatMode: 240
; IeeeMode: 1
; LDSByteSize: 128 bytes/workgroup (compile time only)
; SGPRBlocks: 0
; VGPRBlocks: 1
; NumSGPRsForWavesPerEU: 32
; NumVGPRsForWavesPerEU: 21
; NamedBarCnt: 0
; Occupancy: 16
; WaveLimiterHint : 0
; COMPUTE_PGM_RSRC2:SCRATCH_EN: 0
; COMPUTE_PGM_RSRC2:USER_SGPR: 2
; COMPUTE_PGM_RSRC2:TRAP_HANDLER: 0
; COMPUTE_PGM_RSRC2:TGID_X_EN: 1
; COMPUTE_PGM_RSRC2:TGID_Y_EN: 0
; COMPUTE_PGM_RSRC2:TGID_Z_EN: 1
; COMPUTE_PGM_RSRC2:TIDIG_COMP_CNT: 0
	.section	.text._ZL20rocblas_trmvt_kernelILi512ELb1ELb1ELb1EPKfPfS2_EviT3_lllT4_lllT5_li,"axG",@progbits,_ZL20rocblas_trmvt_kernelILi512ELb1ELb1ELb1EPKfPfS2_EviT3_lllT4_lllT5_li,comdat
	.globl	_ZL20rocblas_trmvt_kernelILi512ELb1ELb1ELb1EPKfPfS2_EviT3_lllT4_lllT5_li ; -- Begin function _ZL20rocblas_trmvt_kernelILi512ELb1ELb1ELb1EPKfPfS2_EviT3_lllT4_lllT5_li
	.p2align	8
	.type	_ZL20rocblas_trmvt_kernelILi512ELb1ELb1ELb1EPKfPfS2_EviT3_lllT4_lllT5_li,@function
_ZL20rocblas_trmvt_kernelILi512ELb1ELb1ELb1EPKfPfS2_EviT3_lllT4_lllT5_li: ; @_ZL20rocblas_trmvt_kernelILi512ELb1ELb1ELb1EPKfPfS2_EviT3_lllT4_lllT5_li
; %bb.0:
	s_load_b32 s26, s[0:1], 0x58
	s_bfe_u32 s2, ttmp6, 0x40014
	s_lshr_b32 s3, ttmp7, 16
	s_add_co_i32 s2, s2, 1
	s_bfe_u32 s5, ttmp6, 0x40008
	s_mul_i32 s4, s3, s2
	s_getreg_b32 s2, hwreg(HW_REG_IB_STS2, 6, 4)
	s_add_co_i32 s5, s5, s4
	s_cmp_eq_u32 s2, 0
	s_mov_b32 s25, 0
	s_cselect_b32 s24, s3, s5
	s_wait_kmcnt 0x0
	s_cmp_ge_u32 s24, s26
	s_cbranch_scc1 .LBB8_21
; %bb.1:
	s_clause 0x2
	s_load_b512 s[4:19], s[0:1], 0x8
	s_load_b32 s27, s[0:1], 0x0
	s_load_b128 s[20:23], s[0:1], 0x48
	v_dual_mov_b32 v3, 0 :: v_dual_bitop2_b32 v2, 31, v0 bitop3:0x40
	s_wait_xcnt 0x0
	s_bfe_u32 s0, ttmp6, 0x4000c
	v_mbcnt_lo_u32_b32 v4, -1, 0
	s_add_co_i32 s1, s0, 1
	v_dual_mov_b32 v1, v3 :: v_dual_lshlrev_b32 v12, 2, v2
	s_and_b32 s3, ttmp6, 15
	s_mul_i32 s28, ttmp9, s1
	v_cmp_gt_u32_e64 s1, 24, v4
	s_add_co_i32 s3, s3, s28
	v_lshl_or_b32 v13, v4, 2, 64
	v_cmp_gt_u32_e64 s0, 32, v0
	v_cmp_eq_u32_e32 vcc_lo, 0, v0
	v_cndmask_b32_e64 v5, 0, 8, s1
	s_wait_kmcnt 0x0
	v_mul_u64_e32 v[6:7], s[16:17], v[0:1]
	s_lshl_b64 s[28:29], s[14:15], 2
	s_cmp_eq_u32 s2, 0
	v_cmp_gt_u32_e64 s2, 28, v4
	v_cmp_gt_i32_e64 s1, s27, v0
	s_cselect_b32 s14, ttmp9, s3
	s_lshl_b64 s[6:7], s[6:7], 2
	s_ashr_i32 s15, s14, 31
	v_cndmask_b32_e64 v9, 0, 4, s2
	v_cmp_gt_u32_e64 s2, 30, v4
	v_cndmask_b32_e64 v8, 0, v0, s1
	s_mul_u64 s[8:9], s[8:9], s[14:15]
	v_add_lshl_u32 v1, v5, v4, 2
	s_lshl_b64 s[8:9], s[8:9], 2
	v_cndmask_b32_e64 v10, 0, 2, s2
	v_cmp_ne_u32_e64 s2, 31, v4
	v_lshrrev_b32_e32 v5, 3, v0
	s_add_nc_u64 s[6:7], s[8:9], s[6:7]
	s_add_nc_u64 s[12:13], s[12:13], s[28:29]
	;; [unrolled: 1-line block ×3, first 2 shown]
	v_add_co_ci_u32_e64 v11, null, 0, v4, s2
	v_cmp_eq_u32_e64 s2, 0, v2
	v_lshlrev_b32_e32 v2, 2, v8
	v_add_lshl_u32 v14, v9, v4, 2
	v_add_lshl_u32 v15, v10, v4, 2
	v_dual_lshlrev_b32 v16, 2, v11 :: v_dual_bitop2_b32 v17, 60, v5 bitop3:0x40
	s_delay_alu instid0(VALU_DEP_4)
	v_add_nc_u64_e32 v[4:5], s[4:5], v[2:3]
	v_cmp_gt_u32_e64 s3, 16, v0
	s_mul_u64 s[28:29], s[16:17], s[14:15]
	s_lshl_b64 s[8:9], s[14:15], 2
	v_lshl_add_u64 v[6:7], v[6:7], 2, s[12:13]
	s_add_nc_u64 s[6:7], s[20:21], s[8:9]
	s_lshl_b64 s[8:9], s[10:11], 2
	s_lshl_b64 s[10:11], s[18:19], 2
	;; [unrolled: 1-line block ×4, first 2 shown]
	s_branch .LBB8_3
.LBB8_2:                                ;   in Loop: Header=BB8_3 Depth=1
	s_wait_xcnt 0x0
	s_or_b32 exec_lo, exec_lo, s4
	s_add_co_i32 s24, s24, 0x10000
	s_delay_alu instid0(SALU_CYCLE_1)
	s_cmp_lt_u32 s24, s26
	s_cbranch_scc0 .LBB8_21
.LBB8_3:                                ; =>This Loop Header: Depth=1
                                        ;     Child Loop BB8_15 Depth 2
	s_wait_dscnt 0x0
	v_mov_b32_e32 v2, 0
	s_and_saveexec_b32 s4, vcc_lo
	s_cbranch_execnz .LBB8_12
; %bb.4:                                ;   in Loop: Header=BB8_3 Depth=1
	s_or_b32 exec_lo, exec_lo, s4
	s_and_saveexec_b32 s5, s1
	s_cbranch_execnz .LBB8_13
.LBB8_5:                                ;   in Loop: Header=BB8_3 Depth=1
	s_or_b32 exec_lo, exec_lo, s5
	s_and_saveexec_b32 s4, s0
.LBB8_6:                                ;   in Loop: Header=BB8_3 Depth=1
	ds_store_b32 v12, v3
.LBB8_7:                                ;   in Loop: Header=BB8_3 Depth=1
	s_or_b32 exec_lo, exec_lo, s4
	ds_bpermute_b32 v8, v13, v2
	s_wait_dscnt 0x0
	s_barrier_signal -1
	s_barrier_wait -1
	v_add_f32_e32 v2, v2, v8
	ds_bpermute_b32 v8, v1, v2
	s_wait_dscnt 0x0
	v_add_f32_e32 v2, v2, v8
	ds_bpermute_b32 v8, v14, v2
	s_wait_dscnt 0x0
	;; [unrolled: 3-line block ×3, first 2 shown]
	v_add_f32_e32 v2, v2, v8
	ds_bpermute_b32 v8, v16, v2
	s_and_saveexec_b32 s4, s2
	s_cbranch_execz .LBB8_9
; %bb.8:                                ;   in Loop: Header=BB8_3 Depth=1
	s_wait_dscnt 0x0
	v_add_f32_e32 v2, v2, v8
	ds_store_b32 v17, v2
.LBB8_9:                                ;   in Loop: Header=BB8_3 Depth=1
	s_or_b32 exec_lo, exec_lo, s4
	v_mov_b32_e32 v2, 0
	s_wait_dscnt 0x0
	s_barrier_signal -1
	s_barrier_wait -1
	s_and_saveexec_b32 s4, s3
	s_cbranch_execnz .LBB8_17
; %bb.10:                               ;   in Loop: Header=BB8_3 Depth=1
	s_or_b32 exec_lo, exec_lo, s4
	s_and_saveexec_b32 s4, s0
	s_cbranch_execnz .LBB8_18
.LBB8_11:                               ;   in Loop: Header=BB8_3 Depth=1
	s_or_b32 exec_lo, exec_lo, s4
	s_and_saveexec_b32 s4, vcc_lo
	s_cbranch_execz .LBB8_2
	s_branch .LBB8_19
.LBB8_12:                               ;   in Loop: Header=BB8_3 Depth=1
	s_mul_u64 s[28:29], s[18:19], s[24:25]
	s_delay_alu instid0(SALU_CYCLE_1) | instskip(NEXT) | instid1(SALU_CYCLE_1)
	s_lshl_b64 s[28:29], s[28:29], 2
	s_add_nc_u64 s[28:29], s[12:13], s[28:29]
	s_delay_alu instid0(SALU_CYCLE_1)
	s_add_nc_u64 s[28:29], s[28:29], s[20:21]
	global_load_b32 v2, v3, s[28:29]
	s_wait_loadcnt 0x0
	v_add_f32_e32 v2, 0, v2
	s_wait_xcnt 0x0
	s_or_b32 exec_lo, exec_lo, s4
	s_and_saveexec_b32 s5, s1
	s_cbranch_execz .LBB8_5
.LBB8_13:                               ;   in Loop: Header=BB8_3 Depth=1
	v_mad_nc_u64_u32 v[8:9], s8, s24, v[4:5]
	v_mad_nc_u64_u32 v[10:11], s10, s24, v[6:7]
	v_mov_b32_e32 v18, v0
	s_mov_b32 s15, 0
	s_delay_alu instid0(VALU_DEP_3) | instskip(NEXT) | instid1(VALU_DEP_3)
	v_mad_u32 v9, s9, s24, v9
	v_mad_u32 v11, s11, s24, v11
	s_branch .LBB8_15
.LBB8_14:                               ;   in Loop: Header=BB8_15 Depth=2
	s_wait_xcnt 0x0
	s_or_b32 exec_lo, exec_lo, s28
	v_add_nc_u32_e32 v18, 0x200, v18
	s_delay_alu instid0(VALU_DEP_4) | instskip(NEXT) | instid1(VALU_DEP_4)
	v_add_nc_u64_e32 v[8:9], 0x800, v[8:9]
	v_add_nc_u64_e32 v[10:11], s[16:17], v[10:11]
	s_delay_alu instid0(VALU_DEP_3) | instskip(SKIP_1) | instid1(SALU_CYCLE_1)
	v_cmp_le_i32_e64 s4, s27, v18
	s_or_b32 s15, s4, s15
	s_and_not1_b32 exec_lo, exec_lo, s15
	s_cbranch_execz .LBB8_20
.LBB8_15:                               ;   Parent Loop BB8_3 Depth=1
                                        ; =>  This Inner Loop Header: Depth=2
	s_mov_b32 s28, exec_lo
	v_cmpx_lt_i32_e64 s14, v18
	s_cbranch_execz .LBB8_14
; %bb.16:                               ;   in Loop: Header=BB8_15 Depth=2
	global_load_b32 v19, v[8:9], off
	global_load_b32 v20, v[10:11], off
	s_wait_loadcnt 0x0
	v_fmac_f32_e32 v2, v19, v20
	s_branch .LBB8_14
.LBB8_17:                               ;   in Loop: Header=BB8_3 Depth=1
	ds_load_b32 v2, v12
	s_or_b32 exec_lo, exec_lo, s4
	s_and_saveexec_b32 s4, s0
	s_cbranch_execz .LBB8_11
.LBB8_18:                               ;   in Loop: Header=BB8_3 Depth=1
	s_wait_dscnt 0x0
	ds_bpermute_b32 v8, v1, v2
	s_wait_dscnt 0x0
	v_add_f32_e32 v2, v2, v8
	ds_bpermute_b32 v8, v14, v2
	s_wait_dscnt 0x0
	v_add_f32_e32 v2, v2, v8
	;; [unrolled: 3-line block ×4, first 2 shown]
	s_or_b32 exec_lo, exec_lo, s4
	s_and_saveexec_b32 s4, vcc_lo
	s_cbranch_execz .LBB8_2
.LBB8_19:                               ;   in Loop: Header=BB8_3 Depth=1
	s_mul_u64 s[28:29], s[22:23], s[24:25]
	s_delay_alu instid0(SALU_CYCLE_1) | instskip(NEXT) | instid1(SALU_CYCLE_1)
	s_lshl_b64 s[28:29], s[28:29], 2
	s_add_nc_u64 s[28:29], s[6:7], s[28:29]
	s_wait_dscnt 0x0
	global_store_b32 v3, v2, s[28:29]
	s_branch .LBB8_2
.LBB8_20:                               ;   in Loop: Header=BB8_3 Depth=1
	s_or_b32 exec_lo, exec_lo, s15
	s_delay_alu instid0(SALU_CYCLE_1)
	s_or_b32 exec_lo, exec_lo, s5
	s_and_saveexec_b32 s4, s0
	s_cbranch_execnz .LBB8_6
	s_branch .LBB8_7
.LBB8_21:
	s_endpgm
	.section	.rodata,"a",@progbits
	.p2align	6, 0x0
	.amdhsa_kernel _ZL20rocblas_trmvt_kernelILi512ELb1ELb1ELb1EPKfPfS2_EviT3_lllT4_lllT5_li
		.amdhsa_group_segment_fixed_size 128
		.amdhsa_private_segment_fixed_size 0
		.amdhsa_kernarg_size 92
		.amdhsa_user_sgpr_count 2
		.amdhsa_user_sgpr_dispatch_ptr 0
		.amdhsa_user_sgpr_queue_ptr 0
		.amdhsa_user_sgpr_kernarg_segment_ptr 1
		.amdhsa_user_sgpr_dispatch_id 0
		.amdhsa_user_sgpr_kernarg_preload_length 0
		.amdhsa_user_sgpr_kernarg_preload_offset 0
		.amdhsa_user_sgpr_private_segment_size 0
		.amdhsa_wavefront_size32 1
		.amdhsa_uses_dynamic_stack 0
		.amdhsa_enable_private_segment 0
		.amdhsa_system_sgpr_workgroup_id_x 1
		.amdhsa_system_sgpr_workgroup_id_y 0
		.amdhsa_system_sgpr_workgroup_id_z 1
		.amdhsa_system_sgpr_workgroup_info 0
		.amdhsa_system_vgpr_workitem_id 0
		.amdhsa_next_free_vgpr 21
		.amdhsa_next_free_sgpr 30
		.amdhsa_named_barrier_count 0
		.amdhsa_reserve_vcc 1
		.amdhsa_float_round_mode_32 0
		.amdhsa_float_round_mode_16_64 0
		.amdhsa_float_denorm_mode_32 3
		.amdhsa_float_denorm_mode_16_64 3
		.amdhsa_fp16_overflow 0
		.amdhsa_memory_ordered 1
		.amdhsa_forward_progress 1
		.amdhsa_inst_pref_size 8
		.amdhsa_round_robin_scheduling 0
		.amdhsa_exception_fp_ieee_invalid_op 0
		.amdhsa_exception_fp_denorm_src 0
		.amdhsa_exception_fp_ieee_div_zero 0
		.amdhsa_exception_fp_ieee_overflow 0
		.amdhsa_exception_fp_ieee_underflow 0
		.amdhsa_exception_fp_ieee_inexact 0
		.amdhsa_exception_int_div_zero 0
	.end_amdhsa_kernel
	.section	.text._ZL20rocblas_trmvt_kernelILi512ELb1ELb1ELb1EPKfPfS2_EviT3_lllT4_lllT5_li,"axG",@progbits,_ZL20rocblas_trmvt_kernelILi512ELb1ELb1ELb1EPKfPfS2_EviT3_lllT4_lllT5_li,comdat
.Lfunc_end8:
	.size	_ZL20rocblas_trmvt_kernelILi512ELb1ELb1ELb1EPKfPfS2_EviT3_lllT4_lllT5_li, .Lfunc_end8-_ZL20rocblas_trmvt_kernelILi512ELb1ELb1ELb1EPKfPfS2_EviT3_lllT4_lllT5_li
                                        ; -- End function
	.set _ZL20rocblas_trmvt_kernelILi512ELb1ELb1ELb1EPKfPfS2_EviT3_lllT4_lllT5_li.num_vgpr, 21
	.set _ZL20rocblas_trmvt_kernelILi512ELb1ELb1ELb1EPKfPfS2_EviT3_lllT4_lllT5_li.num_agpr, 0
	.set _ZL20rocblas_trmvt_kernelILi512ELb1ELb1ELb1EPKfPfS2_EviT3_lllT4_lllT5_li.numbered_sgpr, 30
	.set _ZL20rocblas_trmvt_kernelILi512ELb1ELb1ELb1EPKfPfS2_EviT3_lllT4_lllT5_li.num_named_barrier, 0
	.set _ZL20rocblas_trmvt_kernelILi512ELb1ELb1ELb1EPKfPfS2_EviT3_lllT4_lllT5_li.private_seg_size, 0
	.set _ZL20rocblas_trmvt_kernelILi512ELb1ELb1ELb1EPKfPfS2_EviT3_lllT4_lllT5_li.uses_vcc, 1
	.set _ZL20rocblas_trmvt_kernelILi512ELb1ELb1ELb1EPKfPfS2_EviT3_lllT4_lllT5_li.uses_flat_scratch, 0
	.set _ZL20rocblas_trmvt_kernelILi512ELb1ELb1ELb1EPKfPfS2_EviT3_lllT4_lllT5_li.has_dyn_sized_stack, 0
	.set _ZL20rocblas_trmvt_kernelILi512ELb1ELb1ELb1EPKfPfS2_EviT3_lllT4_lllT5_li.has_recursion, 0
	.set _ZL20rocblas_trmvt_kernelILi512ELb1ELb1ELb1EPKfPfS2_EviT3_lllT4_lllT5_li.has_indirect_call, 0
	.section	.AMDGPU.csdata,"",@progbits
; Kernel info:
; codeLenInByte = 1024
; TotalNumSgprs: 32
; NumVgprs: 21
; ScratchSize: 0
; MemoryBound: 0
; FloatMode: 240
; IeeeMode: 1
; LDSByteSize: 128 bytes/workgroup (compile time only)
; SGPRBlocks: 0
; VGPRBlocks: 1
; NumSGPRsForWavesPerEU: 32
; NumVGPRsForWavesPerEU: 21
; NamedBarCnt: 0
; Occupancy: 16
; WaveLimiterHint : 0
; COMPUTE_PGM_RSRC2:SCRATCH_EN: 0
; COMPUTE_PGM_RSRC2:USER_SGPR: 2
; COMPUTE_PGM_RSRC2:TRAP_HANDLER: 0
; COMPUTE_PGM_RSRC2:TGID_X_EN: 1
; COMPUTE_PGM_RSRC2:TGID_Y_EN: 0
; COMPUTE_PGM_RSRC2:TGID_Z_EN: 1
; COMPUTE_PGM_RSRC2:TIDIG_COMP_CNT: 0
	.section	.text._ZL20rocblas_trmvn_kernelILi64ELi16ELb1ELb0EPKfPfS2_EviT3_lllT4_lllT5_li,"axG",@progbits,_ZL20rocblas_trmvn_kernelILi64ELi16ELb1ELb0EPKfPfS2_EviT3_lllT4_lllT5_li,comdat
	.globl	_ZL20rocblas_trmvn_kernelILi64ELi16ELb1ELb0EPKfPfS2_EviT3_lllT4_lllT5_li ; -- Begin function _ZL20rocblas_trmvn_kernelILi64ELi16ELb1ELb0EPKfPfS2_EviT3_lllT4_lllT5_li
	.p2align	8
	.type	_ZL20rocblas_trmvn_kernelILi64ELi16ELb1ELb0EPKfPfS2_EviT3_lllT4_lllT5_li,@function
_ZL20rocblas_trmvn_kernelILi64ELi16ELb1ELb0EPKfPfS2_EviT3_lllT4_lllT5_li: ; @_ZL20rocblas_trmvn_kernelILi64ELi16ELb1ELb0EPKfPfS2_EviT3_lllT4_lllT5_li
; %bb.0:
	s_load_b32 s3, s[0:1], 0x58
	s_bfe_u32 s2, ttmp6, 0x40014
	s_lshr_b32 s4, ttmp7, 16
	s_add_co_i32 s2, s2, 1
	s_bfe_u32 s6, ttmp6, 0x40008
	s_mul_i32 s5, s4, s2
	s_getreg_b32 s2, hwreg(HW_REG_IB_STS2, 6, 4)
	s_add_co_i32 s6, s6, s5
	s_cmp_eq_u32 s2, 0
	s_mov_b32 s25, 0
	s_cselect_b32 s24, s4, s6
	s_wait_kmcnt 0x0
	s_cmp_ge_u32 s24, s3
	s_cbranch_scc1 .LBB9_14
; %bb.1:
	s_clause 0x1
	s_load_b512 s[4:19], s[0:1], 0x8
	s_load_b32 s20, s[0:1], 0x6c
	s_bfe_u32 s21, ttmp6, 0x4000c
	s_and_b32 s22, ttmp6, 15
	s_add_co_i32 s21, s21, 1
	v_and_b32_e32 v14, 0x3ff, v0
	s_mul_i32 s21, ttmp9, s21
	v_bfe_u32 v2, v0, 10, 10
	s_add_co_i32 s22, s22, s21
	s_load_b32 s26, s[0:1], 0x0
	v_lshlrev_b32_e32 v16, 2, v14
	s_wait_kmcnt 0x0
	s_lshl_b64 s[28:29], s[6:7], 2
	s_lshl_b64 s[14:15], s[14:15], 2
	s_and_b32 s27, s20, 0xffff
	s_cmp_eq_u32 s2, 0
	v_mad_u32_u24 v17, v2, s27, v14
	s_cselect_b32 s2, ttmp9, s22
	s_load_b128 s[20:23], s[0:1], 0x48
	v_lshl_add_u32 v0, s2, 6, v14
	v_mov_b32_e32 v3, 0
	s_wait_xcnt 0x0
	v_cmp_eq_u32_e64 s0, 0, v2
	s_add_nc_u64 s[12:13], s[12:13], s[14:15]
	v_cmp_gt_u32_e64 s1, 64, v17
	v_ashrrev_i32_e32 v1, 31, v0
	v_mul_u64_e32 v[8:9], s[8:9], v[2:3]
	v_mul_u64_e32 v[10:11], s[16:17], v[2:3]
	v_cmp_gt_i32_e32 vcc_lo, s26, v0
	s_add_nc_u64 s[6:7], s[4:5], s[28:29]
	v_mad_nc_u64_u32 v[4:5], v0, s8, v[0:1]
	v_mul_u64_e32 v[6:7], s[16:17], v[0:1]
	v_lshlrev_b64_e32 v[12:13], 2, v[0:1]
	s_lshl_b64 s[14:15], s[16:17], 6
	s_lshl_b64 s[16:17], s[10:11], 2
	s_delay_alu instid0(VALU_DEP_3) | instskip(SKIP_3) | instid1(VALU_DEP_2)
	v_mad_u32 v3, v1, s8, v5
	v_mul_u32_u24_e32 v1, s27, v2
	s_and_b32 s27, s0, vcc_lo
	v_cmp_gt_i32_e64 s0, s26, v2
	v_lshl_add_u32 v1, v1, 2, v16
	s_delay_alu instid0(VALU_DEP_4) | instskip(SKIP_4) | instid1(VALU_DEP_3)
	v_mad_u32 v5, v0, s9, v3
	v_lshlrev_b32_e32 v3, 8, v2
	s_lshl_b64 s[8:9], s[8:9], 6
	v_lshl_add_u64 v[8:9], v[8:9], 2, s[28:29]
	v_lshl_add_u64 v[10:11], v[10:11], 2, s[12:13]
	v_add_nc_u32_e32 v3, v16, v3
	s_delay_alu instid0(VALU_DEP_3) | instskip(SKIP_2) | instid1(VALU_DEP_2)
	v_add_nc_u64_e32 v[14:15], v[8:9], v[12:13]
	s_wait_kmcnt 0x0
	v_add_nc_u64_e32 v[8:9], s[20:21], v[12:13]
	v_add_nc_u64_e32 v[12:13], s[4:5], v[14:15]
	s_lshl_b64 s[4:5], s[18:19], 2
	s_branch .LBB9_3
.LBB9_2:                                ;   in Loop: Header=BB9_3 Depth=1
	s_wait_xcnt 0x0
	s_or_b32 exec_lo, exec_lo, s2
	s_add_co_i32 s24, s24, 0x10000
	s_delay_alu instid0(SALU_CYCLE_1)
	s_cmp_lt_u32 s24, s3
	s_cbranch_scc0 .LBB9_14
.LBB9_3:                                ; =>This Loop Header: Depth=1
                                        ;     Child Loop BB9_8 Depth 2
	v_mov_b32_e32 v18, 0
	s_and_saveexec_b32 s2, s27
	s_cbranch_execz .LBB9_5
; %bb.4:                                ;   in Loop: Header=BB9_3 Depth=1
	s_mul_u64 s[20:21], s[10:11], s[24:25]
	s_mul_u64 s[28:29], s[18:19], s[24:25]
	s_lshl_b64 s[20:21], s[20:21], 2
	s_lshl_b64 s[28:29], s[28:29], 2
	s_add_nc_u64 s[20:21], s[6:7], s[20:21]
	s_add_nc_u64 s[28:29], s[12:13], s[28:29]
	v_lshl_add_u64 v[14:15], v[4:5], 2, s[20:21]
	v_lshl_add_u64 v[16:17], v[6:7], 2, s[28:29]
	global_load_b32 v18, v[14:15], off
	global_load_b32 v19, v[16:17], off
	s_wait_loadcnt 0x0
	v_mul_f32_e32 v18, v18, v19
.LBB9_5:                                ;   in Loop: Header=BB9_3 Depth=1
	s_wait_xcnt 0x0
	s_or_b32 exec_lo, exec_lo, s2
	s_and_saveexec_b32 s20, s0
	s_cbranch_execz .LBB9_11
; %bb.6:                                ;   in Loop: Header=BB9_3 Depth=1
	v_mad_nc_u64_u32 v[14:15], s4, s24, v[10:11]
	v_mad_nc_u64_u32 v[16:17], s16, s24, v[12:13]
	v_mov_b32_e32 v19, v2
	s_mov_b32 s21, 0
	s_delay_alu instid0(VALU_DEP_3) | instskip(NEXT) | instid1(VALU_DEP_3)
	v_mad_u32 v15, s5, s24, v15
	v_mad_u32 v17, s17, s24, v17
	s_branch .LBB9_8
.LBB9_7:                                ;   in Loop: Header=BB9_8 Depth=2
	s_wait_xcnt 0x0
	s_or_b32 exec_lo, exec_lo, s2
	v_add_nc_u32_e32 v19, 16, v19
	v_add_nc_u64_e32 v[14:15], s[14:15], v[14:15]
	v_add_nc_u64_e32 v[16:17], s[8:9], v[16:17]
	s_delay_alu instid0(VALU_DEP_3) | instskip(SKIP_1) | instid1(SALU_CYCLE_1)
	v_cmp_le_i32_e64 s2, s26, v19
	s_or_b32 s21, s2, s21
	s_and_not1_b32 exec_lo, exec_lo, s21
	s_cbranch_execz .LBB9_10
.LBB9_8:                                ;   Parent Loop BB9_3 Depth=1
                                        ; =>  This Inner Loop Header: Depth=2
	v_cmp_lt_i32_e64 s2, v19, v0
	s_and_b32 s28, vcc_lo, s2
	s_delay_alu instid0(SALU_CYCLE_1)
	s_and_saveexec_b32 s2, s28
	s_cbranch_execz .LBB9_7
; %bb.9:                                ;   in Loop: Header=BB9_8 Depth=2
	global_load_b32 v20, v[16:17], off
	global_load_b32 v21, v[14:15], off
	s_wait_loadcnt 0x0
	v_fmac_f32_e32 v18, v20, v21
	s_branch .LBB9_7
.LBB9_10:                               ;   in Loop: Header=BB9_3 Depth=1
	s_or_b32 exec_lo, exec_lo, s21
.LBB9_11:                               ;   in Loop: Header=BB9_3 Depth=1
	s_delay_alu instid0(SALU_CYCLE_1)
	s_or_b32 exec_lo, exec_lo, s20
	ds_store_b32 v3, v18
	s_wait_dscnt 0x0
	s_barrier_signal -1
	s_barrier_wait -1
	s_and_saveexec_b32 s2, s1
	s_cbranch_execz .LBB9_2
; %bb.12:                               ;   in Loop: Header=BB9_3 Depth=1
	ds_load_2addr_stride64_b32 v[14:15], v1 offset1:1
	ds_load_2addr_stride64_b32 v[16:17], v1 offset0:2 offset1:3
	ds_load_2addr_stride64_b32 v[18:19], v1 offset0:4 offset1:5
	;; [unrolled: 1-line block ×3, first 2 shown]
	s_wait_dscnt 0x3
	v_add_f32_e32 v14, v14, v15
	s_wait_dscnt 0x2
	s_delay_alu instid0(VALU_DEP_1) | instskip(NEXT) | instid1(VALU_DEP_1)
	v_add_f32_e32 v14, v16, v14
	v_add_f32_e32 v14, v17, v14
	s_wait_dscnt 0x1
	s_delay_alu instid0(VALU_DEP_1) | instskip(SKIP_3) | instid1(VALU_DEP_1)
	v_add_f32_e32 v16, v18, v14
	ds_load_2addr_stride64_b32 v[14:15], v1 offset0:8 offset1:9
	v_add_f32_e32 v16, v19, v16
	s_wait_dscnt 0x1
	v_add_f32_e32 v18, v20, v16
	ds_load_2addr_stride64_b32 v[16:17], v1 offset0:10 offset1:11
	v_add_f32_e32 v22, v21, v18
	ds_load_2addr_stride64_b32 v[18:19], v1 offset0:12 offset1:13
	ds_load_2addr_stride64_b32 v[20:21], v1 offset0:14 offset1:15
	s_wait_dscnt 0x3
	v_add_f32_e32 v14, v14, v22
	s_delay_alu instid0(VALU_DEP_1) | instskip(SKIP_1) | instid1(VALU_DEP_1)
	v_add_f32_e32 v14, v15, v14
	s_wait_dscnt 0x2
	v_add_f32_e32 v14, v16, v14
	s_delay_alu instid0(VALU_DEP_1) | instskip(SKIP_1) | instid1(VALU_DEP_1)
	v_add_f32_e32 v14, v17, v14
	;; [unrolled: 4-line block ×3, first 2 shown]
	s_wait_dscnt 0x0
	v_add_f32_e32 v14, v20, v14
	s_delay_alu instid0(VALU_DEP_1)
	v_add_f32_e32 v14, v21, v14
	ds_store_b32 v1, v14
	s_and_b32 exec_lo, exec_lo, vcc_lo
	s_cbranch_execz .LBB9_2
; %bb.13:                               ;   in Loop: Header=BB9_3 Depth=1
	s_mul_u64 s[20:21], s[22:23], s[24:25]
	s_delay_alu instid0(SALU_CYCLE_1)
	v_lshl_add_u64 v[16:17], s[20:21], 2, v[8:9]
	global_store_b32 v[16:17], v14, off
	s_branch .LBB9_2
.LBB9_14:
	s_endpgm
	.section	.rodata,"a",@progbits
	.p2align	6, 0x0
	.amdhsa_kernel _ZL20rocblas_trmvn_kernelILi64ELi16ELb1ELb0EPKfPfS2_EviT3_lllT4_lllT5_li
		.amdhsa_group_segment_fixed_size 4096
		.amdhsa_private_segment_fixed_size 0
		.amdhsa_kernarg_size 352
		.amdhsa_user_sgpr_count 2
		.amdhsa_user_sgpr_dispatch_ptr 0
		.amdhsa_user_sgpr_queue_ptr 0
		.amdhsa_user_sgpr_kernarg_segment_ptr 1
		.amdhsa_user_sgpr_dispatch_id 0
		.amdhsa_user_sgpr_kernarg_preload_length 0
		.amdhsa_user_sgpr_kernarg_preload_offset 0
		.amdhsa_user_sgpr_private_segment_size 0
		.amdhsa_wavefront_size32 1
		.amdhsa_uses_dynamic_stack 0
		.amdhsa_enable_private_segment 0
		.amdhsa_system_sgpr_workgroup_id_x 1
		.amdhsa_system_sgpr_workgroup_id_y 0
		.amdhsa_system_sgpr_workgroup_id_z 1
		.amdhsa_system_sgpr_workgroup_info 0
		.amdhsa_system_vgpr_workitem_id 1
		.amdhsa_next_free_vgpr 23
		.amdhsa_next_free_sgpr 30
		.amdhsa_named_barrier_count 0
		.amdhsa_reserve_vcc 1
		.amdhsa_float_round_mode_32 0
		.amdhsa_float_round_mode_16_64 0
		.amdhsa_float_denorm_mode_32 3
		.amdhsa_float_denorm_mode_16_64 3
		.amdhsa_fp16_overflow 0
		.amdhsa_memory_ordered 1
		.amdhsa_forward_progress 1
		.amdhsa_inst_pref_size 8
		.amdhsa_round_robin_scheduling 0
		.amdhsa_exception_fp_ieee_invalid_op 0
		.amdhsa_exception_fp_denorm_src 0
		.amdhsa_exception_fp_ieee_div_zero 0
		.amdhsa_exception_fp_ieee_overflow 0
		.amdhsa_exception_fp_ieee_underflow 0
		.amdhsa_exception_fp_ieee_inexact 0
		.amdhsa_exception_int_div_zero 0
	.end_amdhsa_kernel
	.section	.text._ZL20rocblas_trmvn_kernelILi64ELi16ELb1ELb0EPKfPfS2_EviT3_lllT4_lllT5_li,"axG",@progbits,_ZL20rocblas_trmvn_kernelILi64ELi16ELb1ELb0EPKfPfS2_EviT3_lllT4_lllT5_li,comdat
.Lfunc_end9:
	.size	_ZL20rocblas_trmvn_kernelILi64ELi16ELb1ELb0EPKfPfS2_EviT3_lllT4_lllT5_li, .Lfunc_end9-_ZL20rocblas_trmvn_kernelILi64ELi16ELb1ELb0EPKfPfS2_EviT3_lllT4_lllT5_li
                                        ; -- End function
	.set _ZL20rocblas_trmvn_kernelILi64ELi16ELb1ELb0EPKfPfS2_EviT3_lllT4_lllT5_li.num_vgpr, 23
	.set _ZL20rocblas_trmvn_kernelILi64ELi16ELb1ELb0EPKfPfS2_EviT3_lllT4_lllT5_li.num_agpr, 0
	.set _ZL20rocblas_trmvn_kernelILi64ELi16ELb1ELb0EPKfPfS2_EviT3_lllT4_lllT5_li.numbered_sgpr, 30
	.set _ZL20rocblas_trmvn_kernelILi64ELi16ELb1ELb0EPKfPfS2_EviT3_lllT4_lllT5_li.num_named_barrier, 0
	.set _ZL20rocblas_trmvn_kernelILi64ELi16ELb1ELb0EPKfPfS2_EviT3_lllT4_lllT5_li.private_seg_size, 0
	.set _ZL20rocblas_trmvn_kernelILi64ELi16ELb1ELb0EPKfPfS2_EviT3_lllT4_lllT5_li.uses_vcc, 1
	.set _ZL20rocblas_trmvn_kernelILi64ELi16ELb1ELb0EPKfPfS2_EviT3_lllT4_lllT5_li.uses_flat_scratch, 0
	.set _ZL20rocblas_trmvn_kernelILi64ELi16ELb1ELb0EPKfPfS2_EviT3_lllT4_lllT5_li.has_dyn_sized_stack, 0
	.set _ZL20rocblas_trmvn_kernelILi64ELi16ELb1ELb0EPKfPfS2_EviT3_lllT4_lllT5_li.has_recursion, 0
	.set _ZL20rocblas_trmvn_kernelILi64ELi16ELb1ELb0EPKfPfS2_EviT3_lllT4_lllT5_li.has_indirect_call, 0
	.section	.AMDGPU.csdata,"",@progbits
; Kernel info:
; codeLenInByte = 920
; TotalNumSgprs: 32
; NumVgprs: 23
; ScratchSize: 0
; MemoryBound: 0
; FloatMode: 240
; IeeeMode: 1
; LDSByteSize: 4096 bytes/workgroup (compile time only)
; SGPRBlocks: 0
; VGPRBlocks: 1
; NumSGPRsForWavesPerEU: 32
; NumVGPRsForWavesPerEU: 23
; NamedBarCnt: 0
; Occupancy: 16
; WaveLimiterHint : 0
; COMPUTE_PGM_RSRC2:SCRATCH_EN: 0
; COMPUTE_PGM_RSRC2:USER_SGPR: 2
; COMPUTE_PGM_RSRC2:TRAP_HANDLER: 0
; COMPUTE_PGM_RSRC2:TGID_X_EN: 1
; COMPUTE_PGM_RSRC2:TGID_Y_EN: 0
; COMPUTE_PGM_RSRC2:TGID_Z_EN: 1
; COMPUTE_PGM_RSRC2:TIDIG_COMP_CNT: 1
	.section	.text._ZL20rocblas_trmvt_kernelILi512ELb1ELb0ELb0EPKfPfS2_EviT3_lllT4_lllT5_li,"axG",@progbits,_ZL20rocblas_trmvt_kernelILi512ELb1ELb0ELb0EPKfPfS2_EviT3_lllT4_lllT5_li,comdat
	.globl	_ZL20rocblas_trmvt_kernelILi512ELb1ELb0ELb0EPKfPfS2_EviT3_lllT4_lllT5_li ; -- Begin function _ZL20rocblas_trmvt_kernelILi512ELb1ELb0ELb0EPKfPfS2_EviT3_lllT4_lllT5_li
	.p2align	8
	.type	_ZL20rocblas_trmvt_kernelILi512ELb1ELb0ELb0EPKfPfS2_EviT3_lllT4_lllT5_li,@function
_ZL20rocblas_trmvt_kernelILi512ELb1ELb0ELb0EPKfPfS2_EviT3_lllT4_lllT5_li: ; @_ZL20rocblas_trmvt_kernelILi512ELb1ELb0ELb0EPKfPfS2_EviT3_lllT4_lllT5_li
; %bb.0:
	s_load_b32 s28, s[0:1], 0x58
	s_bfe_u32 s2, ttmp6, 0x40014
	s_lshr_b32 s3, ttmp7, 16
	s_add_co_i32 s2, s2, 1
	s_bfe_u32 s5, ttmp6, 0x40008
	s_mul_i32 s4, s3, s2
	s_getreg_b32 s2, hwreg(HW_REG_IB_STS2, 6, 4)
	s_add_co_i32 s5, s5, s4
	s_cmp_eq_u32 s2, 0
	s_mov_b32 s25, 0
	s_cselect_b32 s24, s3, s5
	s_wait_kmcnt 0x0
	s_cmp_ge_u32 s24, s28
	s_cbranch_scc1 .LBB10_21
; %bb.1:
	s_clause 0x2
	s_load_b32 s29, s[0:1], 0x0
	s_load_b512 s[4:19], s[0:1], 0x8
	s_load_b128 s[20:23], s[0:1], 0x48
	v_mbcnt_lo_u32_b32 v7, -1, 0
	s_wait_xcnt 0x0
	s_bfe_u32 s0, ttmp6, 0x4000c
	v_dual_mov_b32 v3, 0 :: v_dual_bitop2_b32 v6, 31, v0 bitop3:0x40
	s_add_co_i32 s1, s0, 1
	s_and_b32 s3, ttmp6, 15
	s_mul_i32 s26, ttmp9, s1
	v_cmp_gt_u32_e64 s1, 24, v7
	v_dual_mov_b32 v1, v3 :: v_dual_lshlrev_b32 v14, 2, v6
	s_add_co_i32 s3, s3, s26
	v_lshl_or_b32 v15, v7, 2, 64
	v_cndmask_b32_e64 v10, 0, 8, s1
	v_cmp_gt_u32_e64 s0, 32, v0
	v_cmp_eq_u32_e32 vcc_lo, 0, v0
	s_wait_kmcnt 0x0
	v_cmp_gt_i32_e64 s1, s29, v0
	v_mul_u64_e32 v[8:9], s[16:17], v[0:1]
	s_lshl_b64 s[14:15], s[14:15], 2
	s_lshl_b64 s[26:27], s[6:7], 2
	s_cmp_eq_u32 s2, 0
	v_cndmask_b32_e64 v2, 0, v0, s1
	v_cmp_gt_u32_e64 s2, 28, v7
	v_add_lshl_u32 v1, v10, v7, 2
	v_lshrrev_b32_e32 v10, 3, v0
	s_cselect_b32 s6, ttmp9, s3
	v_lshlrev_b32_e32 v2, 2, v2
	v_cndmask_b32_e64 v11, 0, 4, s2
	s_add_nc_u64 s[2:3], s[4:5], s[26:27]
	s_ashr_i32 s7, s6, 31
	v_and_b32_e32 v19, 60, v10
	v_add_nc_u64_e32 v[4:5], s[2:3], v[2:3]
	v_cmp_gt_u32_e64 s2, 30, v7
	v_add_lshl_u32 v16, v11, v7, 2
	s_mul_u64 s[30:31], s[16:17], s[6:7]
	s_lshl_b64 s[16:17], s[16:17], 11
	v_cndmask_b32_e64 v12, 0, 2, s2
	s_mul_u64 s[2:3], s[8:9], s[6:7]
	s_add_nc_u64 s[8:9], s[12:13], s[14:15]
	s_lshl_b64 s[12:13], s[2:3], 2
	v_cmp_ne_u32_e64 s2, 31, v7
	v_add_nc_u64_e32 v[4:5], s[12:13], v[4:5]
	s_add_nc_u64 s[12:13], s[12:13], s[26:27]
	v_add_lshl_u32 v17, v12, v7, 2
	s_add_nc_u64 s[4:5], s[4:5], s[12:13]
	v_add_co_ci_u32_e64 v13, null, 0, v7, s2
	v_cmp_eq_u32_e64 s2, 0, v6
	v_cmp_gt_u32_e64 s3, 16, v0
	v_lshl_add_u64 v[8:9], v[8:9], 2, s[8:9]
	s_delay_alu instid0(VALU_DEP_4)
	v_lshlrev_b32_e32 v18, 2, v13
	v_add_nc_u64_e32 v[6:7], s[4:5], v[2:3]
	s_lshl_b64 s[14:15], s[6:7], 2
	s_lshl_b64 s[26:27], s[30:31], 2
	s_add_nc_u64 s[12:13], s[20:21], s[14:15]
	s_lshl_b64 s[14:15], s[10:11], 2
	s_lshl_b64 s[20:21], s[18:19], 2
	s_branch .LBB10_3
.LBB10_2:                               ;   in Loop: Header=BB10_3 Depth=1
	s_wait_xcnt 0x0
	s_or_b32 exec_lo, exec_lo, s4
	s_add_co_i32 s24, s24, 0x10000
	s_delay_alu instid0(SALU_CYCLE_1)
	s_cmp_lt_u32 s24, s28
	s_cbranch_scc0 .LBB10_21
.LBB10_3:                               ; =>This Loop Header: Depth=1
                                        ;     Child Loop BB10_15 Depth 2
	s_wait_dscnt 0x0
	v_mov_b32_e32 v2, 0
	s_and_saveexec_b32 s4, vcc_lo
	s_cbranch_execnz .LBB10_12
; %bb.4:                                ;   in Loop: Header=BB10_3 Depth=1
	s_or_b32 exec_lo, exec_lo, s4
	s_and_saveexec_b32 s5, s1
	s_cbranch_execnz .LBB10_13
.LBB10_5:                               ;   in Loop: Header=BB10_3 Depth=1
	s_or_b32 exec_lo, exec_lo, s5
	s_and_saveexec_b32 s4, s0
.LBB10_6:                               ;   in Loop: Header=BB10_3 Depth=1
	ds_store_b32 v14, v3
.LBB10_7:                               ;   in Loop: Header=BB10_3 Depth=1
	s_or_b32 exec_lo, exec_lo, s4
	ds_bpermute_b32 v10, v15, v2
	s_wait_dscnt 0x0
	s_barrier_signal -1
	s_barrier_wait -1
	v_add_f32_e32 v2, v2, v10
	ds_bpermute_b32 v10, v1, v2
	s_wait_dscnt 0x0
	v_add_f32_e32 v2, v2, v10
	ds_bpermute_b32 v10, v16, v2
	s_wait_dscnt 0x0
	;; [unrolled: 3-line block ×3, first 2 shown]
	v_add_f32_e32 v2, v2, v10
	ds_bpermute_b32 v10, v18, v2
	s_and_saveexec_b32 s4, s2
	s_cbranch_execz .LBB10_9
; %bb.8:                                ;   in Loop: Header=BB10_3 Depth=1
	s_wait_dscnt 0x0
	v_add_f32_e32 v2, v2, v10
	ds_store_b32 v19, v2
.LBB10_9:                               ;   in Loop: Header=BB10_3 Depth=1
	s_or_b32 exec_lo, exec_lo, s4
	v_mov_b32_e32 v2, 0
	s_wait_dscnt 0x0
	s_barrier_signal -1
	s_barrier_wait -1
	s_and_saveexec_b32 s4, s3
	s_cbranch_execnz .LBB10_17
; %bb.10:                               ;   in Loop: Header=BB10_3 Depth=1
	s_or_b32 exec_lo, exec_lo, s4
	s_and_saveexec_b32 s4, s0
	s_cbranch_execnz .LBB10_18
.LBB10_11:                              ;   in Loop: Header=BB10_3 Depth=1
	s_or_b32 exec_lo, exec_lo, s4
	s_and_saveexec_b32 s4, vcc_lo
	s_cbranch_execz .LBB10_2
	s_branch .LBB10_19
.LBB10_12:                              ;   in Loop: Header=BB10_3 Depth=1
	s_mul_u64 s[30:31], s[10:11], s[24:25]
	s_delay_alu instid0(SALU_CYCLE_1) | instskip(SKIP_1) | instid1(SALU_CYCLE_1)
	v_lshl_add_u64 v[10:11], s[30:31], 2, v[4:5]
	s_mul_u64 s[30:31], s[18:19], s[24:25]
	s_lshl_b64 s[30:31], s[30:31], 2
	s_delay_alu instid0(SALU_CYCLE_1) | instskip(NEXT) | instid1(VALU_DEP_1)
	s_add_nc_u64 s[30:31], s[8:9], s[30:31]
	v_lshl_add_u64 v[10:11], s[6:7], 2, v[10:11]
	s_add_nc_u64 s[30:31], s[30:31], s[26:27]
	global_load_b32 v2, v[10:11], off
	global_load_b32 v12, v3, s[30:31]
	s_wait_loadcnt 0x0
	v_fma_f32 v2, v2, v12, 0
	s_wait_xcnt 0x0
	s_or_b32 exec_lo, exec_lo, s4
	s_and_saveexec_b32 s5, s1
	s_cbranch_execz .LBB10_5
.LBB10_13:                              ;   in Loop: Header=BB10_3 Depth=1
	v_mad_nc_u64_u32 v[10:11], s14, s24, v[6:7]
	v_mad_nc_u64_u32 v[12:13], s20, s24, v[8:9]
	v_mov_b32_e32 v20, v0
	s_mov_b32 s30, 0
	s_delay_alu instid0(VALU_DEP_3) | instskip(NEXT) | instid1(VALU_DEP_3)
	v_mad_u32 v11, s15, s24, v11
	v_mad_u32 v13, s21, s24, v13
	s_branch .LBB10_15
.LBB10_14:                              ;   in Loop: Header=BB10_15 Depth=2
	s_wait_xcnt 0x0
	s_or_b32 exec_lo, exec_lo, s31
	v_add_nc_u32_e32 v20, 0x200, v20
	s_delay_alu instid0(VALU_DEP_4) | instskip(NEXT) | instid1(VALU_DEP_4)
	v_add_nc_u64_e32 v[10:11], 0x800, v[10:11]
	v_add_nc_u64_e32 v[12:13], s[16:17], v[12:13]
	s_delay_alu instid0(VALU_DEP_3) | instskip(SKIP_1) | instid1(SALU_CYCLE_1)
	v_cmp_le_i32_e64 s4, s29, v20
	s_or_b32 s30, s4, s30
	s_and_not1_b32 exec_lo, exec_lo, s30
	s_cbranch_execz .LBB10_20
.LBB10_15:                              ;   Parent Loop BB10_3 Depth=1
                                        ; =>  This Inner Loop Header: Depth=2
	s_mov_b32 s31, exec_lo
	v_cmpx_lt_i32_e64 s6, v20
	s_cbranch_execz .LBB10_14
; %bb.16:                               ;   in Loop: Header=BB10_15 Depth=2
	global_load_b32 v21, v[10:11], off
	global_load_b32 v22, v[12:13], off
	s_wait_loadcnt 0x0
	v_fmac_f32_e32 v2, v21, v22
	s_branch .LBB10_14
.LBB10_17:                              ;   in Loop: Header=BB10_3 Depth=1
	ds_load_b32 v2, v14
	s_or_b32 exec_lo, exec_lo, s4
	s_and_saveexec_b32 s4, s0
	s_cbranch_execz .LBB10_11
.LBB10_18:                              ;   in Loop: Header=BB10_3 Depth=1
	s_wait_dscnt 0x0
	ds_bpermute_b32 v10, v1, v2
	s_wait_dscnt 0x0
	v_add_f32_e32 v2, v2, v10
	ds_bpermute_b32 v10, v16, v2
	s_wait_dscnt 0x0
	v_add_f32_e32 v2, v2, v10
	;; [unrolled: 3-line block ×4, first 2 shown]
	s_or_b32 exec_lo, exec_lo, s4
	s_and_saveexec_b32 s4, vcc_lo
	s_cbranch_execz .LBB10_2
.LBB10_19:                              ;   in Loop: Header=BB10_3 Depth=1
	s_mul_u64 s[30:31], s[22:23], s[24:25]
	s_delay_alu instid0(SALU_CYCLE_1) | instskip(NEXT) | instid1(SALU_CYCLE_1)
	s_lshl_b64 s[30:31], s[30:31], 2
	s_add_nc_u64 s[30:31], s[12:13], s[30:31]
	s_wait_dscnt 0x0
	global_store_b32 v3, v2, s[30:31]
	s_branch .LBB10_2
.LBB10_20:                              ;   in Loop: Header=BB10_3 Depth=1
	s_or_b32 exec_lo, exec_lo, s30
	s_delay_alu instid0(SALU_CYCLE_1)
	s_or_b32 exec_lo, exec_lo, s5
	s_and_saveexec_b32 s4, s0
	s_cbranch_execnz .LBB10_6
	s_branch .LBB10_7
.LBB10_21:
	s_endpgm
	.section	.rodata,"a",@progbits
	.p2align	6, 0x0
	.amdhsa_kernel _ZL20rocblas_trmvt_kernelILi512ELb1ELb0ELb0EPKfPfS2_EviT3_lllT4_lllT5_li
		.amdhsa_group_segment_fixed_size 128
		.amdhsa_private_segment_fixed_size 0
		.amdhsa_kernarg_size 92
		.amdhsa_user_sgpr_count 2
		.amdhsa_user_sgpr_dispatch_ptr 0
		.amdhsa_user_sgpr_queue_ptr 0
		.amdhsa_user_sgpr_kernarg_segment_ptr 1
		.amdhsa_user_sgpr_dispatch_id 0
		.amdhsa_user_sgpr_kernarg_preload_length 0
		.amdhsa_user_sgpr_kernarg_preload_offset 0
		.amdhsa_user_sgpr_private_segment_size 0
		.amdhsa_wavefront_size32 1
		.amdhsa_uses_dynamic_stack 0
		.amdhsa_enable_private_segment 0
		.amdhsa_system_sgpr_workgroup_id_x 1
		.amdhsa_system_sgpr_workgroup_id_y 0
		.amdhsa_system_sgpr_workgroup_id_z 1
		.amdhsa_system_sgpr_workgroup_info 0
		.amdhsa_system_vgpr_workitem_id 0
		.amdhsa_next_free_vgpr 23
		.amdhsa_next_free_sgpr 32
		.amdhsa_named_barrier_count 0
		.amdhsa_reserve_vcc 1
		.amdhsa_float_round_mode_32 0
		.amdhsa_float_round_mode_16_64 0
		.amdhsa_float_denorm_mode_32 3
		.amdhsa_float_denorm_mode_16_64 3
		.amdhsa_fp16_overflow 0
		.amdhsa_memory_ordered 1
		.amdhsa_forward_progress 1
		.amdhsa_inst_pref_size 9
		.amdhsa_round_robin_scheduling 0
		.amdhsa_exception_fp_ieee_invalid_op 0
		.amdhsa_exception_fp_denorm_src 0
		.amdhsa_exception_fp_ieee_div_zero 0
		.amdhsa_exception_fp_ieee_overflow 0
		.amdhsa_exception_fp_ieee_underflow 0
		.amdhsa_exception_fp_ieee_inexact 0
		.amdhsa_exception_int_div_zero 0
	.end_amdhsa_kernel
	.section	.text._ZL20rocblas_trmvt_kernelILi512ELb1ELb0ELb0EPKfPfS2_EviT3_lllT4_lllT5_li,"axG",@progbits,_ZL20rocblas_trmvt_kernelILi512ELb1ELb0ELb0EPKfPfS2_EviT3_lllT4_lllT5_li,comdat
.Lfunc_end10:
	.size	_ZL20rocblas_trmvt_kernelILi512ELb1ELb0ELb0EPKfPfS2_EviT3_lllT4_lllT5_li, .Lfunc_end10-_ZL20rocblas_trmvt_kernelILi512ELb1ELb0ELb0EPKfPfS2_EviT3_lllT4_lllT5_li
                                        ; -- End function
	.set _ZL20rocblas_trmvt_kernelILi512ELb1ELb0ELb0EPKfPfS2_EviT3_lllT4_lllT5_li.num_vgpr, 23
	.set _ZL20rocblas_trmvt_kernelILi512ELb1ELb0ELb0EPKfPfS2_EviT3_lllT4_lllT5_li.num_agpr, 0
	.set _ZL20rocblas_trmvt_kernelILi512ELb1ELb0ELb0EPKfPfS2_EviT3_lllT4_lllT5_li.numbered_sgpr, 32
	.set _ZL20rocblas_trmvt_kernelILi512ELb1ELb0ELb0EPKfPfS2_EviT3_lllT4_lllT5_li.num_named_barrier, 0
	.set _ZL20rocblas_trmvt_kernelILi512ELb1ELb0ELb0EPKfPfS2_EviT3_lllT4_lllT5_li.private_seg_size, 0
	.set _ZL20rocblas_trmvt_kernelILi512ELb1ELb0ELb0EPKfPfS2_EviT3_lllT4_lllT5_li.uses_vcc, 1
	.set _ZL20rocblas_trmvt_kernelILi512ELb1ELb0ELb0EPKfPfS2_EviT3_lllT4_lllT5_li.uses_flat_scratch, 0
	.set _ZL20rocblas_trmvt_kernelILi512ELb1ELb0ELb0EPKfPfS2_EviT3_lllT4_lllT5_li.has_dyn_sized_stack, 0
	.set _ZL20rocblas_trmvt_kernelILi512ELb1ELb0ELb0EPKfPfS2_EviT3_lllT4_lllT5_li.has_recursion, 0
	.set _ZL20rocblas_trmvt_kernelILi512ELb1ELb0ELb0EPKfPfS2_EviT3_lllT4_lllT5_li.has_indirect_call, 0
	.section	.AMDGPU.csdata,"",@progbits
; Kernel info:
; codeLenInByte = 1068
; TotalNumSgprs: 34
; NumVgprs: 23
; ScratchSize: 0
; MemoryBound: 0
; FloatMode: 240
; IeeeMode: 1
; LDSByteSize: 128 bytes/workgroup (compile time only)
; SGPRBlocks: 0
; VGPRBlocks: 1
; NumSGPRsForWavesPerEU: 34
; NumVGPRsForWavesPerEU: 23
; NamedBarCnt: 0
; Occupancy: 16
; WaveLimiterHint : 0
; COMPUTE_PGM_RSRC2:SCRATCH_EN: 0
; COMPUTE_PGM_RSRC2:USER_SGPR: 2
; COMPUTE_PGM_RSRC2:TRAP_HANDLER: 0
; COMPUTE_PGM_RSRC2:TGID_X_EN: 1
; COMPUTE_PGM_RSRC2:TGID_Y_EN: 0
; COMPUTE_PGM_RSRC2:TGID_Z_EN: 1
; COMPUTE_PGM_RSRC2:TIDIG_COMP_CNT: 0
	.section	.text._ZL20rocblas_trmvt_kernelILi512ELb1ELb1ELb0EPKfPfS2_EviT3_lllT4_lllT5_li,"axG",@progbits,_ZL20rocblas_trmvt_kernelILi512ELb1ELb1ELb0EPKfPfS2_EviT3_lllT4_lllT5_li,comdat
	.globl	_ZL20rocblas_trmvt_kernelILi512ELb1ELb1ELb0EPKfPfS2_EviT3_lllT4_lllT5_li ; -- Begin function _ZL20rocblas_trmvt_kernelILi512ELb1ELb1ELb0EPKfPfS2_EviT3_lllT4_lllT5_li
	.p2align	8
	.type	_ZL20rocblas_trmvt_kernelILi512ELb1ELb1ELb0EPKfPfS2_EviT3_lllT4_lllT5_li,@function
_ZL20rocblas_trmvt_kernelILi512ELb1ELb1ELb0EPKfPfS2_EviT3_lllT4_lllT5_li: ; @_ZL20rocblas_trmvt_kernelILi512ELb1ELb1ELb0EPKfPfS2_EviT3_lllT4_lllT5_li
; %bb.0:
	s_load_b32 s28, s[0:1], 0x58
	s_bfe_u32 s2, ttmp6, 0x40014
	s_lshr_b32 s3, ttmp7, 16
	s_add_co_i32 s2, s2, 1
	s_bfe_u32 s5, ttmp6, 0x40008
	s_mul_i32 s4, s3, s2
	s_getreg_b32 s2, hwreg(HW_REG_IB_STS2, 6, 4)
	s_add_co_i32 s5, s5, s4
	s_cmp_eq_u32 s2, 0
	s_mov_b32 s25, 0
	s_cselect_b32 s24, s3, s5
	s_wait_kmcnt 0x0
	s_cmp_ge_u32 s24, s28
	s_cbranch_scc1 .LBB11_21
; %bb.1:
	s_clause 0x2
	s_load_b32 s29, s[0:1], 0x0
	s_load_b512 s[4:19], s[0:1], 0x8
	s_load_b128 s[20:23], s[0:1], 0x48
	v_mbcnt_lo_u32_b32 v7, -1, 0
	s_wait_xcnt 0x0
	s_bfe_u32 s0, ttmp6, 0x4000c
	v_dual_mov_b32 v3, 0 :: v_dual_bitop2_b32 v6, 31, v0 bitop3:0x40
	s_add_co_i32 s1, s0, 1
	s_and_b32 s3, ttmp6, 15
	s_mul_i32 s26, ttmp9, s1
	v_cmp_gt_u32_e64 s1, 24, v7
	v_dual_mov_b32 v1, v3 :: v_dual_lshlrev_b32 v14, 2, v6
	s_add_co_i32 s3, s3, s26
	v_lshl_or_b32 v15, v7, 2, 64
	v_cndmask_b32_e64 v10, 0, 8, s1
	v_cmp_gt_u32_e64 s0, 32, v0
	v_cmp_eq_u32_e32 vcc_lo, 0, v0
	s_wait_kmcnt 0x0
	v_cmp_gt_i32_e64 s1, s29, v0
	v_mul_u64_e32 v[8:9], s[16:17], v[0:1]
	s_lshl_b64 s[14:15], s[14:15], 2
	s_lshl_b64 s[26:27], s[6:7], 2
	s_cmp_eq_u32 s2, 0
	v_cndmask_b32_e64 v2, 0, v0, s1
	v_cmp_gt_u32_e64 s2, 28, v7
	v_add_lshl_u32 v1, v10, v7, 2
	v_lshrrev_b32_e32 v10, 3, v0
	s_cselect_b32 s6, ttmp9, s3
	v_lshlrev_b32_e32 v2, 2, v2
	v_cndmask_b32_e64 v11, 0, 4, s2
	s_add_nc_u64 s[2:3], s[4:5], s[26:27]
	s_ashr_i32 s7, s6, 31
	v_and_b32_e32 v19, 60, v10
	v_add_nc_u64_e32 v[4:5], s[2:3], v[2:3]
	v_cmp_gt_u32_e64 s2, 30, v7
	v_add_lshl_u32 v16, v11, v7, 2
	s_mul_u64 s[30:31], s[16:17], s[6:7]
	s_lshl_b64 s[16:17], s[16:17], 11
	v_cndmask_b32_e64 v12, 0, 2, s2
	s_mul_u64 s[2:3], s[8:9], s[6:7]
	s_add_nc_u64 s[8:9], s[12:13], s[14:15]
	s_lshl_b64 s[12:13], s[2:3], 2
	v_cmp_ne_u32_e64 s2, 31, v7
	v_add_nc_u64_e32 v[4:5], s[12:13], v[4:5]
	s_add_nc_u64 s[12:13], s[12:13], s[26:27]
	v_add_lshl_u32 v17, v12, v7, 2
	s_add_nc_u64 s[4:5], s[4:5], s[12:13]
	v_add_co_ci_u32_e64 v13, null, 0, v7, s2
	v_cmp_eq_u32_e64 s2, 0, v6
	v_cmp_gt_u32_e64 s3, 16, v0
	v_lshl_add_u64 v[8:9], v[8:9], 2, s[8:9]
	s_delay_alu instid0(VALU_DEP_4)
	v_lshlrev_b32_e32 v18, 2, v13
	v_add_nc_u64_e32 v[6:7], s[4:5], v[2:3]
	s_lshl_b64 s[14:15], s[6:7], 2
	s_lshl_b64 s[26:27], s[30:31], 2
	s_add_nc_u64 s[12:13], s[20:21], s[14:15]
	s_lshl_b64 s[14:15], s[10:11], 2
	s_lshl_b64 s[20:21], s[18:19], 2
	s_branch .LBB11_3
.LBB11_2:                               ;   in Loop: Header=BB11_3 Depth=1
	s_wait_xcnt 0x0
	s_or_b32 exec_lo, exec_lo, s4
	s_add_co_i32 s24, s24, 0x10000
	s_delay_alu instid0(SALU_CYCLE_1)
	s_cmp_lt_u32 s24, s28
	s_cbranch_scc0 .LBB11_21
.LBB11_3:                               ; =>This Loop Header: Depth=1
                                        ;     Child Loop BB11_15 Depth 2
	s_wait_dscnt 0x0
	v_mov_b32_e32 v2, 0
	s_and_saveexec_b32 s4, vcc_lo
	s_cbranch_execnz .LBB11_12
; %bb.4:                                ;   in Loop: Header=BB11_3 Depth=1
	s_or_b32 exec_lo, exec_lo, s4
	s_and_saveexec_b32 s5, s1
	s_cbranch_execnz .LBB11_13
.LBB11_5:                               ;   in Loop: Header=BB11_3 Depth=1
	s_or_b32 exec_lo, exec_lo, s5
	s_and_saveexec_b32 s4, s0
.LBB11_6:                               ;   in Loop: Header=BB11_3 Depth=1
	ds_store_b32 v14, v3
.LBB11_7:                               ;   in Loop: Header=BB11_3 Depth=1
	s_or_b32 exec_lo, exec_lo, s4
	ds_bpermute_b32 v10, v15, v2
	s_wait_dscnt 0x0
	s_barrier_signal -1
	s_barrier_wait -1
	v_add_f32_e32 v2, v2, v10
	ds_bpermute_b32 v10, v1, v2
	s_wait_dscnt 0x0
	v_add_f32_e32 v2, v2, v10
	ds_bpermute_b32 v10, v16, v2
	s_wait_dscnt 0x0
	;; [unrolled: 3-line block ×3, first 2 shown]
	v_add_f32_e32 v2, v2, v10
	ds_bpermute_b32 v10, v18, v2
	s_and_saveexec_b32 s4, s2
	s_cbranch_execz .LBB11_9
; %bb.8:                                ;   in Loop: Header=BB11_3 Depth=1
	s_wait_dscnt 0x0
	v_add_f32_e32 v2, v2, v10
	ds_store_b32 v19, v2
.LBB11_9:                               ;   in Loop: Header=BB11_3 Depth=1
	s_or_b32 exec_lo, exec_lo, s4
	v_mov_b32_e32 v2, 0
	s_wait_dscnt 0x0
	s_barrier_signal -1
	s_barrier_wait -1
	s_and_saveexec_b32 s4, s3
	s_cbranch_execnz .LBB11_17
; %bb.10:                               ;   in Loop: Header=BB11_3 Depth=1
	s_or_b32 exec_lo, exec_lo, s4
	s_and_saveexec_b32 s4, s0
	s_cbranch_execnz .LBB11_18
.LBB11_11:                              ;   in Loop: Header=BB11_3 Depth=1
	s_or_b32 exec_lo, exec_lo, s4
	s_and_saveexec_b32 s4, vcc_lo
	s_cbranch_execz .LBB11_2
	s_branch .LBB11_19
.LBB11_12:                              ;   in Loop: Header=BB11_3 Depth=1
	s_mul_u64 s[30:31], s[10:11], s[24:25]
	s_delay_alu instid0(SALU_CYCLE_1) | instskip(SKIP_1) | instid1(SALU_CYCLE_1)
	v_lshl_add_u64 v[10:11], s[30:31], 2, v[4:5]
	s_mul_u64 s[30:31], s[18:19], s[24:25]
	s_lshl_b64 s[30:31], s[30:31], 2
	s_delay_alu instid0(SALU_CYCLE_1) | instskip(NEXT) | instid1(VALU_DEP_1)
	s_add_nc_u64 s[30:31], s[8:9], s[30:31]
	v_lshl_add_u64 v[10:11], s[6:7], 2, v[10:11]
	s_add_nc_u64 s[30:31], s[30:31], s[26:27]
	global_load_b32 v2, v[10:11], off
	global_load_b32 v12, v3, s[30:31]
	s_wait_loadcnt 0x0
	v_fma_f32 v2, v2, v12, 0
	s_wait_xcnt 0x0
	s_or_b32 exec_lo, exec_lo, s4
	s_and_saveexec_b32 s5, s1
	s_cbranch_execz .LBB11_5
.LBB11_13:                              ;   in Loop: Header=BB11_3 Depth=1
	v_mad_nc_u64_u32 v[10:11], s14, s24, v[6:7]
	v_mad_nc_u64_u32 v[12:13], s20, s24, v[8:9]
	v_mov_b32_e32 v20, v0
	s_mov_b32 s30, 0
	s_delay_alu instid0(VALU_DEP_3) | instskip(NEXT) | instid1(VALU_DEP_3)
	v_mad_u32 v11, s15, s24, v11
	v_mad_u32 v13, s21, s24, v13
	s_branch .LBB11_15
.LBB11_14:                              ;   in Loop: Header=BB11_15 Depth=2
	s_wait_xcnt 0x0
	s_or_b32 exec_lo, exec_lo, s31
	v_add_nc_u32_e32 v20, 0x200, v20
	s_delay_alu instid0(VALU_DEP_4) | instskip(NEXT) | instid1(VALU_DEP_4)
	v_add_nc_u64_e32 v[10:11], 0x800, v[10:11]
	v_add_nc_u64_e32 v[12:13], s[16:17], v[12:13]
	s_delay_alu instid0(VALU_DEP_3) | instskip(SKIP_1) | instid1(SALU_CYCLE_1)
	v_cmp_le_i32_e64 s4, s29, v20
	s_or_b32 s30, s4, s30
	s_and_not1_b32 exec_lo, exec_lo, s30
	s_cbranch_execz .LBB11_20
.LBB11_15:                              ;   Parent Loop BB11_3 Depth=1
                                        ; =>  This Inner Loop Header: Depth=2
	s_mov_b32 s31, exec_lo
	v_cmpx_lt_i32_e64 s6, v20
	s_cbranch_execz .LBB11_14
; %bb.16:                               ;   in Loop: Header=BB11_15 Depth=2
	global_load_b32 v21, v[10:11], off
	global_load_b32 v22, v[12:13], off
	s_wait_loadcnt 0x0
	v_fmac_f32_e32 v2, v21, v22
	s_branch .LBB11_14
.LBB11_17:                              ;   in Loop: Header=BB11_3 Depth=1
	ds_load_b32 v2, v14
	s_or_b32 exec_lo, exec_lo, s4
	s_and_saveexec_b32 s4, s0
	s_cbranch_execz .LBB11_11
.LBB11_18:                              ;   in Loop: Header=BB11_3 Depth=1
	s_wait_dscnt 0x0
	ds_bpermute_b32 v10, v1, v2
	s_wait_dscnt 0x0
	v_add_f32_e32 v2, v2, v10
	ds_bpermute_b32 v10, v16, v2
	s_wait_dscnt 0x0
	v_add_f32_e32 v2, v2, v10
	;; [unrolled: 3-line block ×4, first 2 shown]
	s_or_b32 exec_lo, exec_lo, s4
	s_and_saveexec_b32 s4, vcc_lo
	s_cbranch_execz .LBB11_2
.LBB11_19:                              ;   in Loop: Header=BB11_3 Depth=1
	s_mul_u64 s[30:31], s[22:23], s[24:25]
	s_delay_alu instid0(SALU_CYCLE_1) | instskip(NEXT) | instid1(SALU_CYCLE_1)
	s_lshl_b64 s[30:31], s[30:31], 2
	s_add_nc_u64 s[30:31], s[12:13], s[30:31]
	s_wait_dscnt 0x0
	global_store_b32 v3, v2, s[30:31]
	s_branch .LBB11_2
.LBB11_20:                              ;   in Loop: Header=BB11_3 Depth=1
	s_or_b32 exec_lo, exec_lo, s30
	s_delay_alu instid0(SALU_CYCLE_1)
	s_or_b32 exec_lo, exec_lo, s5
	s_and_saveexec_b32 s4, s0
	s_cbranch_execnz .LBB11_6
	s_branch .LBB11_7
.LBB11_21:
	s_endpgm
	.section	.rodata,"a",@progbits
	.p2align	6, 0x0
	.amdhsa_kernel _ZL20rocblas_trmvt_kernelILi512ELb1ELb1ELb0EPKfPfS2_EviT3_lllT4_lllT5_li
		.amdhsa_group_segment_fixed_size 128
		.amdhsa_private_segment_fixed_size 0
		.amdhsa_kernarg_size 92
		.amdhsa_user_sgpr_count 2
		.amdhsa_user_sgpr_dispatch_ptr 0
		.amdhsa_user_sgpr_queue_ptr 0
		.amdhsa_user_sgpr_kernarg_segment_ptr 1
		.amdhsa_user_sgpr_dispatch_id 0
		.amdhsa_user_sgpr_kernarg_preload_length 0
		.amdhsa_user_sgpr_kernarg_preload_offset 0
		.amdhsa_user_sgpr_private_segment_size 0
		.amdhsa_wavefront_size32 1
		.amdhsa_uses_dynamic_stack 0
		.amdhsa_enable_private_segment 0
		.amdhsa_system_sgpr_workgroup_id_x 1
		.amdhsa_system_sgpr_workgroup_id_y 0
		.amdhsa_system_sgpr_workgroup_id_z 1
		.amdhsa_system_sgpr_workgroup_info 0
		.amdhsa_system_vgpr_workitem_id 0
		.amdhsa_next_free_vgpr 23
		.amdhsa_next_free_sgpr 32
		.amdhsa_named_barrier_count 0
		.amdhsa_reserve_vcc 1
		.amdhsa_float_round_mode_32 0
		.amdhsa_float_round_mode_16_64 0
		.amdhsa_float_denorm_mode_32 3
		.amdhsa_float_denorm_mode_16_64 3
		.amdhsa_fp16_overflow 0
		.amdhsa_memory_ordered 1
		.amdhsa_forward_progress 1
		.amdhsa_inst_pref_size 9
		.amdhsa_round_robin_scheduling 0
		.amdhsa_exception_fp_ieee_invalid_op 0
		.amdhsa_exception_fp_denorm_src 0
		.amdhsa_exception_fp_ieee_div_zero 0
		.amdhsa_exception_fp_ieee_overflow 0
		.amdhsa_exception_fp_ieee_underflow 0
		.amdhsa_exception_fp_ieee_inexact 0
		.amdhsa_exception_int_div_zero 0
	.end_amdhsa_kernel
	.section	.text._ZL20rocblas_trmvt_kernelILi512ELb1ELb1ELb0EPKfPfS2_EviT3_lllT4_lllT5_li,"axG",@progbits,_ZL20rocblas_trmvt_kernelILi512ELb1ELb1ELb0EPKfPfS2_EviT3_lllT4_lllT5_li,comdat
.Lfunc_end11:
	.size	_ZL20rocblas_trmvt_kernelILi512ELb1ELb1ELb0EPKfPfS2_EviT3_lllT4_lllT5_li, .Lfunc_end11-_ZL20rocblas_trmvt_kernelILi512ELb1ELb1ELb0EPKfPfS2_EviT3_lllT4_lllT5_li
                                        ; -- End function
	.set _ZL20rocblas_trmvt_kernelILi512ELb1ELb1ELb0EPKfPfS2_EviT3_lllT4_lllT5_li.num_vgpr, 23
	.set _ZL20rocblas_trmvt_kernelILi512ELb1ELb1ELb0EPKfPfS2_EviT3_lllT4_lllT5_li.num_agpr, 0
	.set _ZL20rocblas_trmvt_kernelILi512ELb1ELb1ELb0EPKfPfS2_EviT3_lllT4_lllT5_li.numbered_sgpr, 32
	.set _ZL20rocblas_trmvt_kernelILi512ELb1ELb1ELb0EPKfPfS2_EviT3_lllT4_lllT5_li.num_named_barrier, 0
	.set _ZL20rocblas_trmvt_kernelILi512ELb1ELb1ELb0EPKfPfS2_EviT3_lllT4_lllT5_li.private_seg_size, 0
	.set _ZL20rocblas_trmvt_kernelILi512ELb1ELb1ELb0EPKfPfS2_EviT3_lllT4_lllT5_li.uses_vcc, 1
	.set _ZL20rocblas_trmvt_kernelILi512ELb1ELb1ELb0EPKfPfS2_EviT3_lllT4_lllT5_li.uses_flat_scratch, 0
	.set _ZL20rocblas_trmvt_kernelILi512ELb1ELb1ELb0EPKfPfS2_EviT3_lllT4_lllT5_li.has_dyn_sized_stack, 0
	.set _ZL20rocblas_trmvt_kernelILi512ELb1ELb1ELb0EPKfPfS2_EviT3_lllT4_lllT5_li.has_recursion, 0
	.set _ZL20rocblas_trmvt_kernelILi512ELb1ELb1ELb0EPKfPfS2_EviT3_lllT4_lllT5_li.has_indirect_call, 0
	.section	.AMDGPU.csdata,"",@progbits
; Kernel info:
; codeLenInByte = 1068
; TotalNumSgprs: 34
; NumVgprs: 23
; ScratchSize: 0
; MemoryBound: 0
; FloatMode: 240
; IeeeMode: 1
; LDSByteSize: 128 bytes/workgroup (compile time only)
; SGPRBlocks: 0
; VGPRBlocks: 1
; NumSGPRsForWavesPerEU: 34
; NumVGPRsForWavesPerEU: 23
; NamedBarCnt: 0
; Occupancy: 16
; WaveLimiterHint : 0
; COMPUTE_PGM_RSRC2:SCRATCH_EN: 0
; COMPUTE_PGM_RSRC2:USER_SGPR: 2
; COMPUTE_PGM_RSRC2:TRAP_HANDLER: 0
; COMPUTE_PGM_RSRC2:TGID_X_EN: 1
; COMPUTE_PGM_RSRC2:TGID_Y_EN: 0
; COMPUTE_PGM_RSRC2:TGID_Z_EN: 1
; COMPUTE_PGM_RSRC2:TIDIG_COMP_CNT: 0
	.section	.text._ZL20rocblas_trmvn_kernelILi64ELi16ELb0ELb1EPKdPdS2_EviT3_lllT4_lllT5_li,"axG",@progbits,_ZL20rocblas_trmvn_kernelILi64ELi16ELb0ELb1EPKdPdS2_EviT3_lllT4_lllT5_li,comdat
	.globl	_ZL20rocblas_trmvn_kernelILi64ELi16ELb0ELb1EPKdPdS2_EviT3_lllT4_lllT5_li ; -- Begin function _ZL20rocblas_trmvn_kernelILi64ELi16ELb0ELb1EPKdPdS2_EviT3_lllT4_lllT5_li
	.p2align	8
	.type	_ZL20rocblas_trmvn_kernelILi64ELi16ELb0ELb1EPKdPdS2_EviT3_lllT4_lllT5_li,@function
_ZL20rocblas_trmvn_kernelILi64ELi16ELb0ELb1EPKdPdS2_EviT3_lllT4_lllT5_li: ; @_ZL20rocblas_trmvn_kernelILi64ELi16ELb0ELb1EPKdPdS2_EviT3_lllT4_lllT5_li
; %bb.0:
	s_load_b32 s3, s[0:1], 0x58
	s_bfe_u32 s2, ttmp6, 0x40014
	s_lshr_b32 s4, ttmp7, 16
	s_add_co_i32 s2, s2, 1
	s_bfe_u32 s6, ttmp6, 0x40008
	s_mul_i32 s5, s4, s2
	s_getreg_b32 s2, hwreg(HW_REG_IB_STS2, 6, 4)
	s_add_co_i32 s6, s6, s5
	s_cmp_eq_u32 s2, 0
	s_mov_b32 s25, 0
	s_cselect_b32 s24, s4, s6
	s_wait_kmcnt 0x0
	s_cmp_ge_u32 s24, s3
	s_cbranch_scc1 .LBB12_14
; %bb.1:
	s_clause 0x1
	s_load_b512 s[4:19], s[0:1], 0x8
	s_load_b32 s20, s[0:1], 0x6c
	s_bfe_u32 s21, ttmp6, 0x4000c
	v_and_b32_e32 v12, 0x3ff, v0
	s_add_co_i32 s21, s21, 1
	v_bfe_u32 v2, v0, 10, 10
	s_delay_alu instid0(VALU_DEP_1)
	v_dual_lshlrev_b32 v14, 3, v12 :: v_dual_lshlrev_b32 v15, 9, v2
	s_wait_kmcnt 0x0
	s_lshl_b64 s[26:27], s[14:15], 3
	s_and_b32 s15, s20, 0xffff
	s_and_b32 s14, ttmp6, 15
	s_mul_i32 s20, ttmp9, s21
	s_delay_alu instid0(SALU_CYCLE_1)
	s_add_co_i32 s14, s14, s20
	s_cmp_eq_u32 s2, 0
	s_load_b128 s[20:23], s[0:1], 0x48
	s_cselect_b32 s2, ttmp9, s14
	s_load_b32 s14, s[0:1], 0x0
	v_lshl_add_u32 v0, s2, 6, v12
	v_mov_b32_e32 v3, 0
	s_lshl_b64 s[28:29], s[6:7], 3
	s_wait_xcnt 0x0
	v_cmp_eq_u32_e64 s0, 0, v2
	s_add_nc_u64 s[6:7], s[12:13], s[26:27]
	v_ashrrev_i32_e32 v1, 31, v0
	v_mul_u64_e32 v[6:7], s[8:9], v[2:3]
	v_mul_u64_e32 v[8:9], s[16:17], v[2:3]
	v_mad_u32_u24 v3, v2, s15, v12
	s_lshl_b64 s[12:13], s[16:17], 7
	v_mul_u64_e32 v[4:5], s[16:17], v[0:1]
	v_lshlrev_b64_e32 v[10:11], 3, v[0:1]
	v_mul_u32_u24_e32 v1, s15, v2
	v_cmp_gt_u32_e64 s1, 64, v3
	v_add_nc_u32_e32 v3, v14, v15
	s_lshl_b64 s[10:11], s[10:11], 3
	s_lshl_b64 s[8:9], s[8:9], 7
	v_lshl_add_u32 v1, v1, 3, v14
	s_wait_kmcnt 0x0
	v_cmp_gt_i32_e32 vcc_lo, s14, v0
	s_and_b32 s15, s0, vcc_lo
	v_cmp_gt_i32_e64 s0, s14, v2
	v_lshl_add_u64 v[6:7], v[6:7], 3, s[28:29]
	v_lshl_add_u64 v[8:9], v[8:9], 3, s[6:7]
	s_delay_alu instid0(VALU_DEP_2) | instskip(SKIP_1) | instid1(VALU_DEP_2)
	v_add_nc_u64_e32 v[12:13], v[6:7], v[10:11]
	v_add_nc_u64_e32 v[6:7], s[20:21], v[10:11]
	v_add_nc_u64_e32 v[10:11], s[4:5], v[12:13]
	s_lshl_b64 s[4:5], s[18:19], 3
	s_branch .LBB12_3
.LBB12_2:                               ;   in Loop: Header=BB12_3 Depth=1
	s_wait_xcnt 0x0
	s_or_b32 exec_lo, exec_lo, s2
	s_add_co_i32 s24, s24, 0x10000
	s_delay_alu instid0(SALU_CYCLE_1)
	s_cmp_lt_u32 s24, s3
	s_cbranch_scc0 .LBB12_14
.LBB12_3:                               ; =>This Loop Header: Depth=1
                                        ;     Child Loop BB12_8 Depth 2
	v_mov_b64_e32 v[12:13], 0
	s_and_saveexec_b32 s2, s15
	s_cbranch_execz .LBB12_5
; %bb.4:                                ;   in Loop: Header=BB12_3 Depth=1
	s_mul_u64 s[16:17], s[18:19], s[24:25]
	s_delay_alu instid0(SALU_CYCLE_1) | instskip(NEXT) | instid1(SALU_CYCLE_1)
	s_lshl_b64 s[16:17], s[16:17], 3
	s_add_nc_u64 s[16:17], s[6:7], s[16:17]
	s_delay_alu instid0(SALU_CYCLE_1)
	v_lshl_add_u64 v[12:13], v[4:5], 3, s[16:17]
	global_load_b64 v[12:13], v[12:13], off
.LBB12_5:                               ;   in Loop: Header=BB12_3 Depth=1
	s_wait_xcnt 0x0
	s_or_b32 exec_lo, exec_lo, s2
	s_and_saveexec_b32 s16, s0
	s_cbranch_execz .LBB12_11
; %bb.6:                                ;   in Loop: Header=BB12_3 Depth=1
	v_mad_nc_u64_u32 v[14:15], s4, s24, v[8:9]
	v_mad_nc_u64_u32 v[16:17], s10, s24, v[10:11]
	v_mov_b32_e32 v18, v2
	s_mov_b32 s17, 0
	s_delay_alu instid0(VALU_DEP_3) | instskip(NEXT) | instid1(VALU_DEP_3)
	v_mad_u32 v15, s5, s24, v15
	v_mad_u32 v17, s11, s24, v17
	s_branch .LBB12_8
.LBB12_7:                               ;   in Loop: Header=BB12_8 Depth=2
	s_wait_xcnt 0x0
	s_or_b32 exec_lo, exec_lo, s20
	v_add_nc_u32_e32 v18, 16, v18
	s_delay_alu instid0(VALU_DEP_4) | instskip(NEXT) | instid1(VALU_DEP_4)
	v_add_nc_u64_e32 v[14:15], s[12:13], v[14:15]
	v_add_nc_u64_e32 v[16:17], s[8:9], v[16:17]
	s_delay_alu instid0(VALU_DEP_3) | instskip(SKIP_1) | instid1(SALU_CYCLE_1)
	v_cmp_le_i32_e64 s2, s14, v18
	s_or_b32 s17, s2, s17
	s_and_not1_b32 exec_lo, exec_lo, s17
	s_cbranch_execz .LBB12_10
.LBB12_8:                               ;   Parent Loop BB12_3 Depth=1
                                        ; =>  This Inner Loop Header: Depth=2
	s_mov_b32 s20, exec_lo
	v_cmpx_gt_i32_e64 v18, v0
	s_cbranch_execz .LBB12_7
; %bb.9:                                ;   in Loop: Header=BB12_8 Depth=2
	global_load_b64 v[20:21], v[16:17], off
	global_load_b64 v[22:23], v[14:15], off
	s_wait_loadcnt 0x0
	v_fmac_f64_e32 v[12:13], v[20:21], v[22:23]
	s_branch .LBB12_7
.LBB12_10:                              ;   in Loop: Header=BB12_3 Depth=1
	s_or_b32 exec_lo, exec_lo, s17
.LBB12_11:                              ;   in Loop: Header=BB12_3 Depth=1
	s_delay_alu instid0(SALU_CYCLE_1)
	s_or_b32 exec_lo, exec_lo, s16
	s_wait_loadcnt 0x0
	ds_store_b64 v3, v[12:13]
	s_wait_dscnt 0x0
	s_barrier_signal -1
	s_barrier_wait -1
	s_and_saveexec_b32 s2, s1
	s_cbranch_execz .LBB12_2
; %bb.12:                               ;   in Loop: Header=BB12_3 Depth=1
	ds_load_2addr_stride64_b64 v[12:15], v1 offset1:1
	ds_load_2addr_stride64_b64 v[16:19], v1 offset0:2 offset1:3
	s_wait_dscnt 0x1
	v_add_f64_e32 v[12:13], v[12:13], v[14:15]
	s_wait_dscnt 0x0
	s_delay_alu instid0(VALU_DEP_1) | instskip(NEXT) | instid1(VALU_DEP_1)
	v_add_f64_e32 v[12:13], v[16:17], v[12:13]
	v_add_f64_e32 v[20:21], v[18:19], v[12:13]
	ds_load_2addr_stride64_b64 v[12:15], v1 offset0:4 offset1:5
	ds_load_2addr_stride64_b64 v[16:19], v1 offset0:6 offset1:7
	s_wait_dscnt 0x1
	v_add_f64_e32 v[12:13], v[12:13], v[20:21]
	s_delay_alu instid0(VALU_DEP_1) | instskip(SKIP_1) | instid1(VALU_DEP_1)
	v_add_f64_e32 v[12:13], v[14:15], v[12:13]
	s_wait_dscnt 0x0
	v_add_f64_e32 v[12:13], v[16:17], v[12:13]
	s_delay_alu instid0(VALU_DEP_1) | instskip(SKIP_4) | instid1(VALU_DEP_1)
	v_add_f64_e32 v[20:21], v[18:19], v[12:13]
	ds_load_2addr_stride64_b64 v[12:15], v1 offset0:8 offset1:9
	ds_load_2addr_stride64_b64 v[16:19], v1 offset0:10 offset1:11
	s_wait_dscnt 0x1
	v_add_f64_e32 v[12:13], v[12:13], v[20:21]
	v_add_f64_e32 v[12:13], v[14:15], v[12:13]
	s_wait_dscnt 0x0
	s_delay_alu instid0(VALU_DEP_1) | instskip(NEXT) | instid1(VALU_DEP_1)
	v_add_f64_e32 v[12:13], v[16:17], v[12:13]
	v_add_f64_e32 v[20:21], v[18:19], v[12:13]
	ds_load_2addr_stride64_b64 v[12:15], v1 offset0:12 offset1:13
	ds_load_2addr_stride64_b64 v[16:19], v1 offset0:14 offset1:15
	s_wait_dscnt 0x1
	v_add_f64_e32 v[12:13], v[12:13], v[20:21]
	s_delay_alu instid0(VALU_DEP_1) | instskip(SKIP_1) | instid1(VALU_DEP_1)
	v_add_f64_e32 v[12:13], v[14:15], v[12:13]
	s_wait_dscnt 0x0
	v_add_f64_e32 v[12:13], v[16:17], v[12:13]
	s_delay_alu instid0(VALU_DEP_1)
	v_add_f64_e32 v[12:13], v[18:19], v[12:13]
	ds_store_b64 v1, v[12:13]
	s_and_b32 exec_lo, exec_lo, vcc_lo
	s_cbranch_execz .LBB12_2
; %bb.13:                               ;   in Loop: Header=BB12_3 Depth=1
	s_mul_u64 s[16:17], s[22:23], s[24:25]
	s_delay_alu instid0(SALU_CYCLE_1)
	v_lshl_add_u64 v[14:15], s[16:17], 3, v[6:7]
	global_store_b64 v[14:15], v[12:13], off
	s_branch .LBB12_2
.LBB12_14:
	s_endpgm
	.section	.rodata,"a",@progbits
	.p2align	6, 0x0
	.amdhsa_kernel _ZL20rocblas_trmvn_kernelILi64ELi16ELb0ELb1EPKdPdS2_EviT3_lllT4_lllT5_li
		.amdhsa_group_segment_fixed_size 8192
		.amdhsa_private_segment_fixed_size 0
		.amdhsa_kernarg_size 352
		.amdhsa_user_sgpr_count 2
		.amdhsa_user_sgpr_dispatch_ptr 0
		.amdhsa_user_sgpr_queue_ptr 0
		.amdhsa_user_sgpr_kernarg_segment_ptr 1
		.amdhsa_user_sgpr_dispatch_id 0
		.amdhsa_user_sgpr_kernarg_preload_length 0
		.amdhsa_user_sgpr_kernarg_preload_offset 0
		.amdhsa_user_sgpr_private_segment_size 0
		.amdhsa_wavefront_size32 1
		.amdhsa_uses_dynamic_stack 0
		.amdhsa_enable_private_segment 0
		.amdhsa_system_sgpr_workgroup_id_x 1
		.amdhsa_system_sgpr_workgroup_id_y 0
		.amdhsa_system_sgpr_workgroup_id_z 1
		.amdhsa_system_sgpr_workgroup_info 0
		.amdhsa_system_vgpr_workitem_id 1
		.amdhsa_next_free_vgpr 24
		.amdhsa_next_free_sgpr 30
		.amdhsa_named_barrier_count 0
		.amdhsa_reserve_vcc 1
		.amdhsa_float_round_mode_32 0
		.amdhsa_float_round_mode_16_64 0
		.amdhsa_float_denorm_mode_32 3
		.amdhsa_float_denorm_mode_16_64 3
		.amdhsa_fp16_overflow 0
		.amdhsa_memory_ordered 1
		.amdhsa_forward_progress 1
		.amdhsa_inst_pref_size 7
		.amdhsa_round_robin_scheduling 0
		.amdhsa_exception_fp_ieee_invalid_op 0
		.amdhsa_exception_fp_denorm_src 0
		.amdhsa_exception_fp_ieee_div_zero 0
		.amdhsa_exception_fp_ieee_overflow 0
		.amdhsa_exception_fp_ieee_underflow 0
		.amdhsa_exception_fp_ieee_inexact 0
		.amdhsa_exception_int_div_zero 0
	.end_amdhsa_kernel
	.section	.text._ZL20rocblas_trmvn_kernelILi64ELi16ELb0ELb1EPKdPdS2_EviT3_lllT4_lllT5_li,"axG",@progbits,_ZL20rocblas_trmvn_kernelILi64ELi16ELb0ELb1EPKdPdS2_EviT3_lllT4_lllT5_li,comdat
.Lfunc_end12:
	.size	_ZL20rocblas_trmvn_kernelILi64ELi16ELb0ELb1EPKdPdS2_EviT3_lllT4_lllT5_li, .Lfunc_end12-_ZL20rocblas_trmvn_kernelILi64ELi16ELb0ELb1EPKdPdS2_EviT3_lllT4_lllT5_li
                                        ; -- End function
	.set _ZL20rocblas_trmvn_kernelILi64ELi16ELb0ELb1EPKdPdS2_EviT3_lllT4_lllT5_li.num_vgpr, 24
	.set _ZL20rocblas_trmvn_kernelILi64ELi16ELb0ELb1EPKdPdS2_EviT3_lllT4_lllT5_li.num_agpr, 0
	.set _ZL20rocblas_trmvn_kernelILi64ELi16ELb0ELb1EPKdPdS2_EviT3_lllT4_lllT5_li.numbered_sgpr, 30
	.set _ZL20rocblas_trmvn_kernelILi64ELi16ELb0ELb1EPKdPdS2_EviT3_lllT4_lllT5_li.num_named_barrier, 0
	.set _ZL20rocblas_trmvn_kernelILi64ELi16ELb0ELb1EPKdPdS2_EviT3_lllT4_lllT5_li.private_seg_size, 0
	.set _ZL20rocblas_trmvn_kernelILi64ELi16ELb0ELb1EPKdPdS2_EviT3_lllT4_lllT5_li.uses_vcc, 1
	.set _ZL20rocblas_trmvn_kernelILi64ELi16ELb0ELb1EPKdPdS2_EviT3_lllT4_lllT5_li.uses_flat_scratch, 0
	.set _ZL20rocblas_trmvn_kernelILi64ELi16ELb0ELb1EPKdPdS2_EviT3_lllT4_lllT5_li.has_dyn_sized_stack, 0
	.set _ZL20rocblas_trmvn_kernelILi64ELi16ELb0ELb1EPKdPdS2_EviT3_lllT4_lllT5_li.has_recursion, 0
	.set _ZL20rocblas_trmvn_kernelILi64ELi16ELb0ELb1EPKdPdS2_EviT3_lllT4_lllT5_li.has_indirect_call, 0
	.section	.AMDGPU.csdata,"",@progbits
; Kernel info:
; codeLenInByte = 864
; TotalNumSgprs: 32
; NumVgprs: 24
; ScratchSize: 0
; MemoryBound: 1
; FloatMode: 240
; IeeeMode: 1
; LDSByteSize: 8192 bytes/workgroup (compile time only)
; SGPRBlocks: 0
; VGPRBlocks: 1
; NumSGPRsForWavesPerEU: 32
; NumVGPRsForWavesPerEU: 24
; NamedBarCnt: 0
; Occupancy: 16
; WaveLimiterHint : 0
; COMPUTE_PGM_RSRC2:SCRATCH_EN: 0
; COMPUTE_PGM_RSRC2:USER_SGPR: 2
; COMPUTE_PGM_RSRC2:TRAP_HANDLER: 0
; COMPUTE_PGM_RSRC2:TGID_X_EN: 1
; COMPUTE_PGM_RSRC2:TGID_Y_EN: 0
; COMPUTE_PGM_RSRC2:TGID_Z_EN: 1
; COMPUTE_PGM_RSRC2:TIDIG_COMP_CNT: 1
	.section	.text._ZL20rocblas_trmvt_kernelILi512ELb0ELb0ELb1EPKdPdS2_EviT3_lllT4_lllT5_li,"axG",@progbits,_ZL20rocblas_trmvt_kernelILi512ELb0ELb0ELb1EPKdPdS2_EviT3_lllT4_lllT5_li,comdat
	.globl	_ZL20rocblas_trmvt_kernelILi512ELb0ELb0ELb1EPKdPdS2_EviT3_lllT4_lllT5_li ; -- Begin function _ZL20rocblas_trmvt_kernelILi512ELb0ELb0ELb1EPKdPdS2_EviT3_lllT4_lllT5_li
	.p2align	8
	.type	_ZL20rocblas_trmvt_kernelILi512ELb0ELb0ELb1EPKdPdS2_EviT3_lllT4_lllT5_li,@function
_ZL20rocblas_trmvt_kernelILi512ELb0ELb0ELb1EPKdPdS2_EviT3_lllT4_lllT5_li: ; @_ZL20rocblas_trmvt_kernelILi512ELb0ELb0ELb1EPKdPdS2_EviT3_lllT4_lllT5_li
; %bb.0:
	s_load_b32 s26, s[0:1], 0x58
	s_bfe_u32 s2, ttmp6, 0x40014
	s_lshr_b32 s3, ttmp7, 16
	s_add_co_i32 s2, s2, 1
	s_bfe_u32 s5, ttmp6, 0x40008
	s_mul_i32 s4, s3, s2
	s_getreg_b32 s2, hwreg(HW_REG_IB_STS2, 6, 4)
	s_add_co_i32 s5, s5, s4
	s_cmp_eq_u32 s2, 0
	s_mov_b32 s25, 0
	s_cselect_b32 s24, s3, s5
	s_wait_kmcnt 0x0
	s_cmp_ge_u32 s24, s26
	s_cbranch_scc1 .LBB13_21
; %bb.1:
	s_clause 0x2
	s_load_b512 s[4:19], s[0:1], 0x8
	s_load_b32 s27, s[0:1], 0x0
	s_load_b128 s[20:23], s[0:1], 0x48
	v_dual_mov_b32 v3, 0 :: v_dual_bitop2_b32 v2, 31, v0 bitop3:0x40
	s_wait_xcnt 0x0
	s_bfe_u32 s0, ttmp6, 0x4000c
	v_mbcnt_lo_u32_b32 v4, -1, 0
	s_add_co_i32 s1, s0, 1
	v_dual_mov_b32 v1, v3 :: v_dual_lshlrev_b32 v16, 3, v2
	s_and_b32 s3, ttmp6, 15
	s_mul_i32 s28, ttmp9, s1
	v_cmp_gt_u32_e64 s1, 24, v4
	s_add_co_i32 s3, s3, s28
	v_lshl_or_b32 v17, v4, 2, 64
	v_cmp_gt_u32_e64 s0, 32, v0
	v_cmp_eq_u32_e32 vcc_lo, 0, v0
	v_cndmask_b32_e64 v5, 0, 8, s1
	s_wait_kmcnt 0x0
	v_mul_u64_e32 v[8:9], s[16:17], v[0:1]
	s_lshl_b64 s[28:29], s[14:15], 3
	s_cmp_eq_u32 s2, 0
	v_cmp_gt_u32_e64 s2, 28, v4
	v_cmp_gt_i32_e64 s1, s27, v0
	s_cselect_b32 s14, ttmp9, s3
	s_lshl_b64 s[6:7], s[6:7], 3
	s_ashr_i32 s15, s14, 31
	v_cndmask_b32_e64 v7, 0, 4, s2
	v_cmp_gt_u32_e64 s2, 30, v4
	v_cndmask_b32_e64 v6, 0, v0, s1
	s_mul_u64 s[8:9], s[8:9], s[14:15]
	v_add_lshl_u32 v1, v5, v4, 2
	s_lshl_b64 s[8:9], s[8:9], 3
	v_cndmask_b32_e64 v10, 0, 2, s2
	v_cmp_ne_u32_e64 s2, 31, v4
	v_lshrrev_b32_e32 v5, 2, v0
	s_add_nc_u64 s[6:7], s[8:9], s[6:7]
	s_add_nc_u64 s[12:13], s[12:13], s[28:29]
	;; [unrolled: 1-line block ×3, first 2 shown]
	v_add_co_ci_u32_e64 v11, null, 0, v4, s2
	v_cmp_eq_u32_e64 s2, 0, v2
	v_lshlrev_b32_e32 v2, 3, v6
	v_add_lshl_u32 v18, v7, v4, 2
	s_delay_alu instid0(VALU_DEP_4)
	v_lshlrev_b32_e32 v20, 2, v11
	v_add_lshl_u32 v19, v10, v4, 2
	v_and_b32_e32 v21, 0x78, v5
	v_add_nc_u64_e32 v[4:5], s[4:5], v[2:3]
	v_mov_b64_e32 v[6:7], 0
	v_cmp_gt_u32_e64 s3, 16, v0
	s_mul_u64 s[28:29], s[16:17], s[14:15]
	v_lshl_add_u64 v[8:9], v[8:9], 3, s[12:13]
	s_lshl_b64 s[8:9], s[14:15], 3
	s_lshl_b64 s[16:17], s[16:17], 12
	s_add_nc_u64 s[6:7], s[20:21], s[8:9]
	s_lshl_b64 s[8:9], s[10:11], 3
	s_lshl_b64 s[10:11], s[18:19], 3
	;; [unrolled: 1-line block ×3, first 2 shown]
	s_branch .LBB13_3
.LBB13_2:                               ;   in Loop: Header=BB13_3 Depth=1
	s_wait_xcnt 0x0
	s_or_b32 exec_lo, exec_lo, s4
	s_add_co_i32 s24, s24, 0x10000
	s_delay_alu instid0(SALU_CYCLE_1)
	s_cmp_lt_u32 s24, s26
	s_cbranch_scc0 .LBB13_21
.LBB13_3:                               ; =>This Loop Header: Depth=1
                                        ;     Child Loop BB13_15 Depth 2
	s_wait_dscnt 0x0
	v_mov_b64_e32 v[10:11], 0
	s_and_saveexec_b32 s4, vcc_lo
	s_cbranch_execnz .LBB13_12
; %bb.4:                                ;   in Loop: Header=BB13_3 Depth=1
	s_or_b32 exec_lo, exec_lo, s4
	s_and_saveexec_b32 s5, s1
	s_cbranch_execnz .LBB13_13
.LBB13_5:                               ;   in Loop: Header=BB13_3 Depth=1
	s_or_b32 exec_lo, exec_lo, s5
	s_and_saveexec_b32 s4, s0
.LBB13_6:                               ;   in Loop: Header=BB13_3 Depth=1
	ds_store_b64 v16, v[6:7]
.LBB13_7:                               ;   in Loop: Header=BB13_3 Depth=1
	s_or_b32 exec_lo, exec_lo, s4
	ds_bpermute_b32 v12, v17, v10
	ds_bpermute_b32 v13, v17, v11
	s_wait_dscnt 0x0
	s_barrier_signal -1
	s_barrier_wait -1
	v_add_f64_e32 v[10:11], v[10:11], v[12:13]
	ds_bpermute_b32 v12, v1, v10
	ds_bpermute_b32 v13, v1, v11
	s_wait_dscnt 0x0
	v_add_f64_e32 v[10:11], v[10:11], v[12:13]
	ds_bpermute_b32 v12, v18, v10
	ds_bpermute_b32 v13, v18, v11
	s_wait_dscnt 0x0
	;; [unrolled: 4-line block ×3, first 2 shown]
	v_add_f64_e32 v[10:11], v[10:11], v[12:13]
	ds_bpermute_b32 v12, v20, v10
	ds_bpermute_b32 v13, v20, v11
	s_and_saveexec_b32 s4, s2
	s_cbranch_execz .LBB13_9
; %bb.8:                                ;   in Loop: Header=BB13_3 Depth=1
	s_wait_dscnt 0x0
	v_add_f64_e32 v[10:11], v[10:11], v[12:13]
	ds_store_b64 v21, v[10:11]
.LBB13_9:                               ;   in Loop: Header=BB13_3 Depth=1
	s_or_b32 exec_lo, exec_lo, s4
	v_mov_b64_e32 v[10:11], 0
	s_wait_dscnt 0x0
	s_barrier_signal -1
	s_barrier_wait -1
	s_and_saveexec_b32 s4, s3
	s_cbranch_execnz .LBB13_17
; %bb.10:                               ;   in Loop: Header=BB13_3 Depth=1
	s_or_b32 exec_lo, exec_lo, s4
	s_and_saveexec_b32 s4, s0
	s_cbranch_execnz .LBB13_18
.LBB13_11:                              ;   in Loop: Header=BB13_3 Depth=1
	s_or_b32 exec_lo, exec_lo, s4
	s_and_saveexec_b32 s4, vcc_lo
	s_cbranch_execz .LBB13_2
	s_branch .LBB13_19
.LBB13_12:                              ;   in Loop: Header=BB13_3 Depth=1
	s_mul_u64 s[28:29], s[18:19], s[24:25]
	s_delay_alu instid0(SALU_CYCLE_1) | instskip(NEXT) | instid1(SALU_CYCLE_1)
	s_lshl_b64 s[28:29], s[28:29], 3
	s_add_nc_u64 s[28:29], s[12:13], s[28:29]
	s_delay_alu instid0(SALU_CYCLE_1)
	s_add_nc_u64 s[28:29], s[28:29], s[20:21]
	global_load_b64 v[10:11], v3, s[28:29]
	s_wait_loadcnt 0x0
	v_add_f64_e32 v[10:11], 0, v[10:11]
	s_wait_xcnt 0x0
	s_or_b32 exec_lo, exec_lo, s4
	s_and_saveexec_b32 s5, s1
	s_cbranch_execz .LBB13_5
.LBB13_13:                              ;   in Loop: Header=BB13_3 Depth=1
	v_mad_nc_u64_u32 v[12:13], s8, s24, v[4:5]
	v_mad_nc_u64_u32 v[14:15], s10, s24, v[8:9]
	v_mov_b32_e32 v2, v0
	s_mov_b32 s15, 0
	s_delay_alu instid0(VALU_DEP_3) | instskip(NEXT) | instid1(VALU_DEP_3)
	v_mad_u32 v13, s9, s24, v13
	v_mad_u32 v15, s11, s24, v15
	s_branch .LBB13_15
.LBB13_14:                              ;   in Loop: Header=BB13_15 Depth=2
	s_wait_xcnt 0x0
	s_or_b32 exec_lo, exec_lo, s28
	v_add_nc_u32_e32 v2, 0x200, v2
	s_delay_alu instid0(VALU_DEP_4) | instskip(NEXT) | instid1(VALU_DEP_4)
	v_add_nc_u64_e32 v[12:13], 0x1000, v[12:13]
	v_add_nc_u64_e32 v[14:15], s[16:17], v[14:15]
	s_delay_alu instid0(VALU_DEP_3) | instskip(SKIP_1) | instid1(SALU_CYCLE_1)
	v_cmp_le_i32_e64 s4, s27, v2
	s_or_b32 s15, s4, s15
	s_and_not1_b32 exec_lo, exec_lo, s15
	s_cbranch_execz .LBB13_20
.LBB13_15:                              ;   Parent Loop BB13_3 Depth=1
                                        ; =>  This Inner Loop Header: Depth=2
	s_mov_b32 s28, exec_lo
	v_cmpx_gt_i32_e64 s14, v2
	s_cbranch_execz .LBB13_14
; %bb.16:                               ;   in Loop: Header=BB13_15 Depth=2
	global_load_b64 v[22:23], v[12:13], off
	global_load_b64 v[24:25], v[14:15], off
	s_wait_loadcnt 0x0
	v_fmac_f64_e32 v[10:11], v[22:23], v[24:25]
	s_branch .LBB13_14
.LBB13_17:                              ;   in Loop: Header=BB13_3 Depth=1
	ds_load_b64 v[10:11], v16
	s_or_b32 exec_lo, exec_lo, s4
	s_and_saveexec_b32 s4, s0
	s_cbranch_execz .LBB13_11
.LBB13_18:                              ;   in Loop: Header=BB13_3 Depth=1
	s_wait_dscnt 0x0
	ds_bpermute_b32 v12, v1, v10
	ds_bpermute_b32 v13, v1, v11
	s_wait_dscnt 0x0
	v_add_f64_e32 v[10:11], v[10:11], v[12:13]
	ds_bpermute_b32 v12, v18, v10
	ds_bpermute_b32 v13, v18, v11
	s_wait_dscnt 0x0
	v_add_f64_e32 v[10:11], v[10:11], v[12:13]
	;; [unrolled: 4-line block ×4, first 2 shown]
	s_or_b32 exec_lo, exec_lo, s4
	s_and_saveexec_b32 s4, vcc_lo
	s_cbranch_execz .LBB13_2
.LBB13_19:                              ;   in Loop: Header=BB13_3 Depth=1
	s_mul_u64 s[28:29], s[22:23], s[24:25]
	s_delay_alu instid0(SALU_CYCLE_1) | instskip(NEXT) | instid1(SALU_CYCLE_1)
	s_lshl_b64 s[28:29], s[28:29], 3
	s_add_nc_u64 s[28:29], s[6:7], s[28:29]
	s_wait_dscnt 0x0
	global_store_b64 v3, v[10:11], s[28:29]
	s_branch .LBB13_2
.LBB13_20:                              ;   in Loop: Header=BB13_3 Depth=1
	s_or_b32 exec_lo, exec_lo, s15
	s_delay_alu instid0(SALU_CYCLE_1)
	s_or_b32 exec_lo, exec_lo, s5
	s_and_saveexec_b32 s4, s0
	s_cbranch_execnz .LBB13_6
	s_branch .LBB13_7
.LBB13_21:
	s_endpgm
	.section	.rodata,"a",@progbits
	.p2align	6, 0x0
	.amdhsa_kernel _ZL20rocblas_trmvt_kernelILi512ELb0ELb0ELb1EPKdPdS2_EviT3_lllT4_lllT5_li
		.amdhsa_group_segment_fixed_size 256
		.amdhsa_private_segment_fixed_size 0
		.amdhsa_kernarg_size 92
		.amdhsa_user_sgpr_count 2
		.amdhsa_user_sgpr_dispatch_ptr 0
		.amdhsa_user_sgpr_queue_ptr 0
		.amdhsa_user_sgpr_kernarg_segment_ptr 1
		.amdhsa_user_sgpr_dispatch_id 0
		.amdhsa_user_sgpr_kernarg_preload_length 0
		.amdhsa_user_sgpr_kernarg_preload_offset 0
		.amdhsa_user_sgpr_private_segment_size 0
		.amdhsa_wavefront_size32 1
		.amdhsa_uses_dynamic_stack 0
		.amdhsa_enable_private_segment 0
		.amdhsa_system_sgpr_workgroup_id_x 1
		.amdhsa_system_sgpr_workgroup_id_y 0
		.amdhsa_system_sgpr_workgroup_id_z 1
		.amdhsa_system_sgpr_workgroup_info 0
		.amdhsa_system_vgpr_workitem_id 0
		.amdhsa_next_free_vgpr 26
		.amdhsa_next_free_sgpr 30
		.amdhsa_named_barrier_count 0
		.amdhsa_reserve_vcc 1
		.amdhsa_float_round_mode_32 0
		.amdhsa_float_round_mode_16_64 0
		.amdhsa_float_denorm_mode_32 3
		.amdhsa_float_denorm_mode_16_64 3
		.amdhsa_fp16_overflow 0
		.amdhsa_memory_ordered 1
		.amdhsa_forward_progress 1
		.amdhsa_inst_pref_size 9
		.amdhsa_round_robin_scheduling 0
		.amdhsa_exception_fp_ieee_invalid_op 0
		.amdhsa_exception_fp_denorm_src 0
		.amdhsa_exception_fp_ieee_div_zero 0
		.amdhsa_exception_fp_ieee_overflow 0
		.amdhsa_exception_fp_ieee_underflow 0
		.amdhsa_exception_fp_ieee_inexact 0
		.amdhsa_exception_int_div_zero 0
	.end_amdhsa_kernel
	.section	.text._ZL20rocblas_trmvt_kernelILi512ELb0ELb0ELb1EPKdPdS2_EviT3_lllT4_lllT5_li,"axG",@progbits,_ZL20rocblas_trmvt_kernelILi512ELb0ELb0ELb1EPKdPdS2_EviT3_lllT4_lllT5_li,comdat
.Lfunc_end13:
	.size	_ZL20rocblas_trmvt_kernelILi512ELb0ELb0ELb1EPKdPdS2_EviT3_lllT4_lllT5_li, .Lfunc_end13-_ZL20rocblas_trmvt_kernelILi512ELb0ELb0ELb1EPKdPdS2_EviT3_lllT4_lllT5_li
                                        ; -- End function
	.set _ZL20rocblas_trmvt_kernelILi512ELb0ELb0ELb1EPKdPdS2_EviT3_lllT4_lllT5_li.num_vgpr, 26
	.set _ZL20rocblas_trmvt_kernelILi512ELb0ELb0ELb1EPKdPdS2_EviT3_lllT4_lllT5_li.num_agpr, 0
	.set _ZL20rocblas_trmvt_kernelILi512ELb0ELb0ELb1EPKdPdS2_EviT3_lllT4_lllT5_li.numbered_sgpr, 30
	.set _ZL20rocblas_trmvt_kernelILi512ELb0ELb0ELb1EPKdPdS2_EviT3_lllT4_lllT5_li.num_named_barrier, 0
	.set _ZL20rocblas_trmvt_kernelILi512ELb0ELb0ELb1EPKdPdS2_EviT3_lllT4_lllT5_li.private_seg_size, 0
	.set _ZL20rocblas_trmvt_kernelILi512ELb0ELb0ELb1EPKdPdS2_EviT3_lllT4_lllT5_li.uses_vcc, 1
	.set _ZL20rocblas_trmvt_kernelILi512ELb0ELb0ELb1EPKdPdS2_EviT3_lllT4_lllT5_li.uses_flat_scratch, 0
	.set _ZL20rocblas_trmvt_kernelILi512ELb0ELb0ELb1EPKdPdS2_EviT3_lllT4_lllT5_li.has_dyn_sized_stack, 0
	.set _ZL20rocblas_trmvt_kernelILi512ELb0ELb0ELb1EPKdPdS2_EviT3_lllT4_lllT5_li.has_recursion, 0
	.set _ZL20rocblas_trmvt_kernelILi512ELb0ELb0ELb1EPKdPdS2_EviT3_lllT4_lllT5_li.has_indirect_call, 0
	.section	.AMDGPU.csdata,"",@progbits
; Kernel info:
; codeLenInByte = 1100
; TotalNumSgprs: 32
; NumVgprs: 26
; ScratchSize: 0
; MemoryBound: 1
; FloatMode: 240
; IeeeMode: 1
; LDSByteSize: 256 bytes/workgroup (compile time only)
; SGPRBlocks: 0
; VGPRBlocks: 1
; NumSGPRsForWavesPerEU: 32
; NumVGPRsForWavesPerEU: 26
; NamedBarCnt: 0
; Occupancy: 16
; WaveLimiterHint : 0
; COMPUTE_PGM_RSRC2:SCRATCH_EN: 0
; COMPUTE_PGM_RSRC2:USER_SGPR: 2
; COMPUTE_PGM_RSRC2:TRAP_HANDLER: 0
; COMPUTE_PGM_RSRC2:TGID_X_EN: 1
; COMPUTE_PGM_RSRC2:TGID_Y_EN: 0
; COMPUTE_PGM_RSRC2:TGID_Z_EN: 1
; COMPUTE_PGM_RSRC2:TIDIG_COMP_CNT: 0
	.section	.text._ZL20rocblas_trmvt_kernelILi512ELb0ELb1ELb1EPKdPdS2_EviT3_lllT4_lllT5_li,"axG",@progbits,_ZL20rocblas_trmvt_kernelILi512ELb0ELb1ELb1EPKdPdS2_EviT3_lllT4_lllT5_li,comdat
	.globl	_ZL20rocblas_trmvt_kernelILi512ELb0ELb1ELb1EPKdPdS2_EviT3_lllT4_lllT5_li ; -- Begin function _ZL20rocblas_trmvt_kernelILi512ELb0ELb1ELb1EPKdPdS2_EviT3_lllT4_lllT5_li
	.p2align	8
	.type	_ZL20rocblas_trmvt_kernelILi512ELb0ELb1ELb1EPKdPdS2_EviT3_lllT4_lllT5_li,@function
_ZL20rocblas_trmvt_kernelILi512ELb0ELb1ELb1EPKdPdS2_EviT3_lllT4_lllT5_li: ; @_ZL20rocblas_trmvt_kernelILi512ELb0ELb1ELb1EPKdPdS2_EviT3_lllT4_lllT5_li
; %bb.0:
	s_load_b32 s26, s[0:1], 0x58
	s_bfe_u32 s2, ttmp6, 0x40014
	s_lshr_b32 s3, ttmp7, 16
	s_add_co_i32 s2, s2, 1
	s_bfe_u32 s5, ttmp6, 0x40008
	s_mul_i32 s4, s3, s2
	s_getreg_b32 s2, hwreg(HW_REG_IB_STS2, 6, 4)
	s_add_co_i32 s5, s5, s4
	s_cmp_eq_u32 s2, 0
	s_mov_b32 s25, 0
	s_cselect_b32 s24, s3, s5
	s_wait_kmcnt 0x0
	s_cmp_ge_u32 s24, s26
	s_cbranch_scc1 .LBB14_21
; %bb.1:
	s_clause 0x2
	s_load_b512 s[4:19], s[0:1], 0x8
	s_load_b32 s27, s[0:1], 0x0
	s_load_b128 s[20:23], s[0:1], 0x48
	v_dual_mov_b32 v3, 0 :: v_dual_bitop2_b32 v2, 31, v0 bitop3:0x40
	s_wait_xcnt 0x0
	s_bfe_u32 s0, ttmp6, 0x4000c
	v_mbcnt_lo_u32_b32 v4, -1, 0
	s_add_co_i32 s1, s0, 1
	v_dual_mov_b32 v1, v3 :: v_dual_lshlrev_b32 v16, 3, v2
	s_and_b32 s3, ttmp6, 15
	s_mul_i32 s28, ttmp9, s1
	v_cmp_gt_u32_e64 s1, 24, v4
	s_add_co_i32 s3, s3, s28
	v_lshl_or_b32 v17, v4, 2, 64
	v_cmp_gt_u32_e64 s0, 32, v0
	v_cmp_eq_u32_e32 vcc_lo, 0, v0
	v_cndmask_b32_e64 v5, 0, 8, s1
	s_wait_kmcnt 0x0
	v_mul_u64_e32 v[8:9], s[16:17], v[0:1]
	s_lshl_b64 s[28:29], s[14:15], 3
	s_cmp_eq_u32 s2, 0
	v_cmp_gt_u32_e64 s2, 28, v4
	v_cmp_gt_i32_e64 s1, s27, v0
	s_cselect_b32 s14, ttmp9, s3
	s_lshl_b64 s[6:7], s[6:7], 3
	s_ashr_i32 s15, s14, 31
	v_cndmask_b32_e64 v7, 0, 4, s2
	v_cmp_gt_u32_e64 s2, 30, v4
	v_cndmask_b32_e64 v6, 0, v0, s1
	s_mul_u64 s[8:9], s[8:9], s[14:15]
	v_add_lshl_u32 v1, v5, v4, 2
	s_lshl_b64 s[8:9], s[8:9], 3
	v_cndmask_b32_e64 v10, 0, 2, s2
	v_cmp_ne_u32_e64 s2, 31, v4
	v_lshrrev_b32_e32 v5, 2, v0
	s_add_nc_u64 s[6:7], s[8:9], s[6:7]
	s_add_nc_u64 s[12:13], s[12:13], s[28:29]
	;; [unrolled: 1-line block ×3, first 2 shown]
	v_add_co_ci_u32_e64 v11, null, 0, v4, s2
	v_cmp_eq_u32_e64 s2, 0, v2
	v_lshlrev_b32_e32 v2, 3, v6
	v_add_lshl_u32 v18, v7, v4, 2
	s_delay_alu instid0(VALU_DEP_4)
	v_lshlrev_b32_e32 v20, 2, v11
	v_add_lshl_u32 v19, v10, v4, 2
	v_and_b32_e32 v21, 0x78, v5
	v_add_nc_u64_e32 v[4:5], s[4:5], v[2:3]
	v_mov_b64_e32 v[6:7], 0
	v_cmp_gt_u32_e64 s3, 16, v0
	s_mul_u64 s[28:29], s[16:17], s[14:15]
	v_lshl_add_u64 v[8:9], v[8:9], 3, s[12:13]
	s_lshl_b64 s[8:9], s[14:15], 3
	s_lshl_b64 s[16:17], s[16:17], 12
	s_add_nc_u64 s[6:7], s[20:21], s[8:9]
	s_lshl_b64 s[8:9], s[10:11], 3
	s_lshl_b64 s[10:11], s[18:19], 3
	;; [unrolled: 1-line block ×3, first 2 shown]
	s_branch .LBB14_3
.LBB14_2:                               ;   in Loop: Header=BB14_3 Depth=1
	s_wait_xcnt 0x0
	s_or_b32 exec_lo, exec_lo, s4
	s_add_co_i32 s24, s24, 0x10000
	s_delay_alu instid0(SALU_CYCLE_1)
	s_cmp_lt_u32 s24, s26
	s_cbranch_scc0 .LBB14_21
.LBB14_3:                               ; =>This Loop Header: Depth=1
                                        ;     Child Loop BB14_15 Depth 2
	s_wait_dscnt 0x0
	v_mov_b64_e32 v[10:11], 0
	s_and_saveexec_b32 s4, vcc_lo
	s_cbranch_execnz .LBB14_12
; %bb.4:                                ;   in Loop: Header=BB14_3 Depth=1
	s_or_b32 exec_lo, exec_lo, s4
	s_and_saveexec_b32 s5, s1
	s_cbranch_execnz .LBB14_13
.LBB14_5:                               ;   in Loop: Header=BB14_3 Depth=1
	s_or_b32 exec_lo, exec_lo, s5
	s_and_saveexec_b32 s4, s0
.LBB14_6:                               ;   in Loop: Header=BB14_3 Depth=1
	ds_store_b64 v16, v[6:7]
.LBB14_7:                               ;   in Loop: Header=BB14_3 Depth=1
	s_or_b32 exec_lo, exec_lo, s4
	ds_bpermute_b32 v12, v17, v10
	ds_bpermute_b32 v13, v17, v11
	s_wait_dscnt 0x0
	s_barrier_signal -1
	s_barrier_wait -1
	v_add_f64_e32 v[10:11], v[10:11], v[12:13]
	ds_bpermute_b32 v12, v1, v10
	ds_bpermute_b32 v13, v1, v11
	s_wait_dscnt 0x0
	v_add_f64_e32 v[10:11], v[10:11], v[12:13]
	ds_bpermute_b32 v12, v18, v10
	ds_bpermute_b32 v13, v18, v11
	s_wait_dscnt 0x0
	;; [unrolled: 4-line block ×3, first 2 shown]
	v_add_f64_e32 v[10:11], v[10:11], v[12:13]
	ds_bpermute_b32 v12, v20, v10
	ds_bpermute_b32 v13, v20, v11
	s_and_saveexec_b32 s4, s2
	s_cbranch_execz .LBB14_9
; %bb.8:                                ;   in Loop: Header=BB14_3 Depth=1
	s_wait_dscnt 0x0
	v_add_f64_e32 v[10:11], v[10:11], v[12:13]
	ds_store_b64 v21, v[10:11]
.LBB14_9:                               ;   in Loop: Header=BB14_3 Depth=1
	s_or_b32 exec_lo, exec_lo, s4
	v_mov_b64_e32 v[10:11], 0
	s_wait_dscnt 0x0
	s_barrier_signal -1
	s_barrier_wait -1
	s_and_saveexec_b32 s4, s3
	s_cbranch_execnz .LBB14_17
; %bb.10:                               ;   in Loop: Header=BB14_3 Depth=1
	s_or_b32 exec_lo, exec_lo, s4
	s_and_saveexec_b32 s4, s0
	s_cbranch_execnz .LBB14_18
.LBB14_11:                              ;   in Loop: Header=BB14_3 Depth=1
	s_or_b32 exec_lo, exec_lo, s4
	s_and_saveexec_b32 s4, vcc_lo
	s_cbranch_execz .LBB14_2
	s_branch .LBB14_19
.LBB14_12:                              ;   in Loop: Header=BB14_3 Depth=1
	s_mul_u64 s[28:29], s[18:19], s[24:25]
	s_delay_alu instid0(SALU_CYCLE_1) | instskip(NEXT) | instid1(SALU_CYCLE_1)
	s_lshl_b64 s[28:29], s[28:29], 3
	s_add_nc_u64 s[28:29], s[12:13], s[28:29]
	s_delay_alu instid0(SALU_CYCLE_1)
	s_add_nc_u64 s[28:29], s[28:29], s[20:21]
	global_load_b64 v[10:11], v3, s[28:29]
	s_wait_loadcnt 0x0
	v_add_f64_e32 v[10:11], 0, v[10:11]
	s_wait_xcnt 0x0
	s_or_b32 exec_lo, exec_lo, s4
	s_and_saveexec_b32 s5, s1
	s_cbranch_execz .LBB14_5
.LBB14_13:                              ;   in Loop: Header=BB14_3 Depth=1
	v_mad_nc_u64_u32 v[12:13], s8, s24, v[4:5]
	v_mad_nc_u64_u32 v[14:15], s10, s24, v[8:9]
	v_mov_b32_e32 v2, v0
	s_mov_b32 s15, 0
	s_delay_alu instid0(VALU_DEP_3) | instskip(NEXT) | instid1(VALU_DEP_3)
	v_mad_u32 v13, s9, s24, v13
	v_mad_u32 v15, s11, s24, v15
	s_branch .LBB14_15
.LBB14_14:                              ;   in Loop: Header=BB14_15 Depth=2
	s_wait_xcnt 0x0
	s_or_b32 exec_lo, exec_lo, s28
	v_add_nc_u32_e32 v2, 0x200, v2
	s_delay_alu instid0(VALU_DEP_4) | instskip(NEXT) | instid1(VALU_DEP_4)
	v_add_nc_u64_e32 v[12:13], 0x1000, v[12:13]
	v_add_nc_u64_e32 v[14:15], s[16:17], v[14:15]
	s_delay_alu instid0(VALU_DEP_3) | instskip(SKIP_1) | instid1(SALU_CYCLE_1)
	v_cmp_le_i32_e64 s4, s27, v2
	s_or_b32 s15, s4, s15
	s_and_not1_b32 exec_lo, exec_lo, s15
	s_cbranch_execz .LBB14_20
.LBB14_15:                              ;   Parent Loop BB14_3 Depth=1
                                        ; =>  This Inner Loop Header: Depth=2
	s_mov_b32 s28, exec_lo
	v_cmpx_gt_i32_e64 s14, v2
	s_cbranch_execz .LBB14_14
; %bb.16:                               ;   in Loop: Header=BB14_15 Depth=2
	global_load_b64 v[22:23], v[12:13], off
	global_load_b64 v[24:25], v[14:15], off
	s_wait_loadcnt 0x0
	v_fmac_f64_e32 v[10:11], v[22:23], v[24:25]
	s_branch .LBB14_14
.LBB14_17:                              ;   in Loop: Header=BB14_3 Depth=1
	ds_load_b64 v[10:11], v16
	s_or_b32 exec_lo, exec_lo, s4
	s_and_saveexec_b32 s4, s0
	s_cbranch_execz .LBB14_11
.LBB14_18:                              ;   in Loop: Header=BB14_3 Depth=1
	s_wait_dscnt 0x0
	ds_bpermute_b32 v12, v1, v10
	ds_bpermute_b32 v13, v1, v11
	s_wait_dscnt 0x0
	v_add_f64_e32 v[10:11], v[10:11], v[12:13]
	ds_bpermute_b32 v12, v18, v10
	ds_bpermute_b32 v13, v18, v11
	s_wait_dscnt 0x0
	v_add_f64_e32 v[10:11], v[10:11], v[12:13]
	;; [unrolled: 4-line block ×4, first 2 shown]
	s_or_b32 exec_lo, exec_lo, s4
	s_and_saveexec_b32 s4, vcc_lo
	s_cbranch_execz .LBB14_2
.LBB14_19:                              ;   in Loop: Header=BB14_3 Depth=1
	s_mul_u64 s[28:29], s[22:23], s[24:25]
	s_delay_alu instid0(SALU_CYCLE_1) | instskip(NEXT) | instid1(SALU_CYCLE_1)
	s_lshl_b64 s[28:29], s[28:29], 3
	s_add_nc_u64 s[28:29], s[6:7], s[28:29]
	s_wait_dscnt 0x0
	global_store_b64 v3, v[10:11], s[28:29]
	s_branch .LBB14_2
.LBB14_20:                              ;   in Loop: Header=BB14_3 Depth=1
	s_or_b32 exec_lo, exec_lo, s15
	s_delay_alu instid0(SALU_CYCLE_1)
	s_or_b32 exec_lo, exec_lo, s5
	s_and_saveexec_b32 s4, s0
	s_cbranch_execnz .LBB14_6
	s_branch .LBB14_7
.LBB14_21:
	s_endpgm
	.section	.rodata,"a",@progbits
	.p2align	6, 0x0
	.amdhsa_kernel _ZL20rocblas_trmvt_kernelILi512ELb0ELb1ELb1EPKdPdS2_EviT3_lllT4_lllT5_li
		.amdhsa_group_segment_fixed_size 256
		.amdhsa_private_segment_fixed_size 0
		.amdhsa_kernarg_size 92
		.amdhsa_user_sgpr_count 2
		.amdhsa_user_sgpr_dispatch_ptr 0
		.amdhsa_user_sgpr_queue_ptr 0
		.amdhsa_user_sgpr_kernarg_segment_ptr 1
		.amdhsa_user_sgpr_dispatch_id 0
		.amdhsa_user_sgpr_kernarg_preload_length 0
		.amdhsa_user_sgpr_kernarg_preload_offset 0
		.amdhsa_user_sgpr_private_segment_size 0
		.amdhsa_wavefront_size32 1
		.amdhsa_uses_dynamic_stack 0
		.amdhsa_enable_private_segment 0
		.amdhsa_system_sgpr_workgroup_id_x 1
		.amdhsa_system_sgpr_workgroup_id_y 0
		.amdhsa_system_sgpr_workgroup_id_z 1
		.amdhsa_system_sgpr_workgroup_info 0
		.amdhsa_system_vgpr_workitem_id 0
		.amdhsa_next_free_vgpr 26
		.amdhsa_next_free_sgpr 30
		.amdhsa_named_barrier_count 0
		.amdhsa_reserve_vcc 1
		.amdhsa_float_round_mode_32 0
		.amdhsa_float_round_mode_16_64 0
		.amdhsa_float_denorm_mode_32 3
		.amdhsa_float_denorm_mode_16_64 3
		.amdhsa_fp16_overflow 0
		.amdhsa_memory_ordered 1
		.amdhsa_forward_progress 1
		.amdhsa_inst_pref_size 9
		.amdhsa_round_robin_scheduling 0
		.amdhsa_exception_fp_ieee_invalid_op 0
		.amdhsa_exception_fp_denorm_src 0
		.amdhsa_exception_fp_ieee_div_zero 0
		.amdhsa_exception_fp_ieee_overflow 0
		.amdhsa_exception_fp_ieee_underflow 0
		.amdhsa_exception_fp_ieee_inexact 0
		.amdhsa_exception_int_div_zero 0
	.end_amdhsa_kernel
	.section	.text._ZL20rocblas_trmvt_kernelILi512ELb0ELb1ELb1EPKdPdS2_EviT3_lllT4_lllT5_li,"axG",@progbits,_ZL20rocblas_trmvt_kernelILi512ELb0ELb1ELb1EPKdPdS2_EviT3_lllT4_lllT5_li,comdat
.Lfunc_end14:
	.size	_ZL20rocblas_trmvt_kernelILi512ELb0ELb1ELb1EPKdPdS2_EviT3_lllT4_lllT5_li, .Lfunc_end14-_ZL20rocblas_trmvt_kernelILi512ELb0ELb1ELb1EPKdPdS2_EviT3_lllT4_lllT5_li
                                        ; -- End function
	.set _ZL20rocblas_trmvt_kernelILi512ELb0ELb1ELb1EPKdPdS2_EviT3_lllT4_lllT5_li.num_vgpr, 26
	.set _ZL20rocblas_trmvt_kernelILi512ELb0ELb1ELb1EPKdPdS2_EviT3_lllT4_lllT5_li.num_agpr, 0
	.set _ZL20rocblas_trmvt_kernelILi512ELb0ELb1ELb1EPKdPdS2_EviT3_lllT4_lllT5_li.numbered_sgpr, 30
	.set _ZL20rocblas_trmvt_kernelILi512ELb0ELb1ELb1EPKdPdS2_EviT3_lllT4_lllT5_li.num_named_barrier, 0
	.set _ZL20rocblas_trmvt_kernelILi512ELb0ELb1ELb1EPKdPdS2_EviT3_lllT4_lllT5_li.private_seg_size, 0
	.set _ZL20rocblas_trmvt_kernelILi512ELb0ELb1ELb1EPKdPdS2_EviT3_lllT4_lllT5_li.uses_vcc, 1
	.set _ZL20rocblas_trmvt_kernelILi512ELb0ELb1ELb1EPKdPdS2_EviT3_lllT4_lllT5_li.uses_flat_scratch, 0
	.set _ZL20rocblas_trmvt_kernelILi512ELb0ELb1ELb1EPKdPdS2_EviT3_lllT4_lllT5_li.has_dyn_sized_stack, 0
	.set _ZL20rocblas_trmvt_kernelILi512ELb0ELb1ELb1EPKdPdS2_EviT3_lllT4_lllT5_li.has_recursion, 0
	.set _ZL20rocblas_trmvt_kernelILi512ELb0ELb1ELb1EPKdPdS2_EviT3_lllT4_lllT5_li.has_indirect_call, 0
	.section	.AMDGPU.csdata,"",@progbits
; Kernel info:
; codeLenInByte = 1100
; TotalNumSgprs: 32
; NumVgprs: 26
; ScratchSize: 0
; MemoryBound: 1
; FloatMode: 240
; IeeeMode: 1
; LDSByteSize: 256 bytes/workgroup (compile time only)
; SGPRBlocks: 0
; VGPRBlocks: 1
; NumSGPRsForWavesPerEU: 32
; NumVGPRsForWavesPerEU: 26
; NamedBarCnt: 0
; Occupancy: 16
; WaveLimiterHint : 0
; COMPUTE_PGM_RSRC2:SCRATCH_EN: 0
; COMPUTE_PGM_RSRC2:USER_SGPR: 2
; COMPUTE_PGM_RSRC2:TRAP_HANDLER: 0
; COMPUTE_PGM_RSRC2:TGID_X_EN: 1
; COMPUTE_PGM_RSRC2:TGID_Y_EN: 0
; COMPUTE_PGM_RSRC2:TGID_Z_EN: 1
; COMPUTE_PGM_RSRC2:TIDIG_COMP_CNT: 0
	.section	.text._ZL20rocblas_trmvn_kernelILi64ELi16ELb0ELb0EPKdPdS2_EviT3_lllT4_lllT5_li,"axG",@progbits,_ZL20rocblas_trmvn_kernelILi64ELi16ELb0ELb0EPKdPdS2_EviT3_lllT4_lllT5_li,comdat
	.globl	_ZL20rocblas_trmvn_kernelILi64ELi16ELb0ELb0EPKdPdS2_EviT3_lllT4_lllT5_li ; -- Begin function _ZL20rocblas_trmvn_kernelILi64ELi16ELb0ELb0EPKdPdS2_EviT3_lllT4_lllT5_li
	.p2align	8
	.type	_ZL20rocblas_trmvn_kernelILi64ELi16ELb0ELb0EPKdPdS2_EviT3_lllT4_lllT5_li,@function
_ZL20rocblas_trmvn_kernelILi64ELi16ELb0ELb0EPKdPdS2_EviT3_lllT4_lllT5_li: ; @_ZL20rocblas_trmvn_kernelILi64ELi16ELb0ELb0EPKdPdS2_EviT3_lllT4_lllT5_li
; %bb.0:
	s_load_b32 s3, s[0:1], 0x58
	s_bfe_u32 s2, ttmp6, 0x40014
	s_lshr_b32 s4, ttmp7, 16
	s_add_co_i32 s2, s2, 1
	s_bfe_u32 s6, ttmp6, 0x40008
	s_mul_i32 s5, s4, s2
	s_getreg_b32 s2, hwreg(HW_REG_IB_STS2, 6, 4)
	s_add_co_i32 s6, s6, s5
	s_cmp_eq_u32 s2, 0
	s_mov_b32 s25, 0
	s_cselect_b32 s24, s4, s6
	s_wait_kmcnt 0x0
	s_cmp_ge_u32 s24, s3
	s_cbranch_scc1 .LBB15_14
; %bb.1:
	s_clause 0x1
	s_load_b512 s[4:19], s[0:1], 0x8
	s_load_b32 s20, s[0:1], 0x6c
	s_bfe_u32 s21, ttmp6, 0x4000c
	s_and_b32 s22, ttmp6, 15
	s_add_co_i32 s21, s21, 1
	v_and_b32_e32 v14, 0x3ff, v0
	s_mul_i32 s21, ttmp9, s21
	v_bfe_u32 v2, v0, 10, 10
	s_add_co_i32 s22, s22, s21
	s_load_b32 s26, s[0:1], 0x0
	v_lshlrev_b32_e32 v16, 3, v14
	s_wait_kmcnt 0x0
	s_lshl_b64 s[28:29], s[6:7], 3
	s_lshl_b64 s[14:15], s[14:15], 3
	s_and_b32 s27, s20, 0xffff
	s_cmp_eq_u32 s2, 0
	v_mad_u32_u24 v17, v2, s27, v14
	s_cselect_b32 s2, ttmp9, s22
	s_load_b128 s[20:23], s[0:1], 0x48
	v_lshl_add_u32 v0, s2, 6, v14
	v_mov_b32_e32 v3, 0
	s_wait_xcnt 0x0
	v_cmp_eq_u32_e64 s0, 0, v2
	s_add_nc_u64 s[12:13], s[12:13], s[14:15]
	v_cmp_gt_u32_e64 s1, 64, v17
	v_ashrrev_i32_e32 v1, 31, v0
	v_mul_u64_e32 v[8:9], s[8:9], v[2:3]
	v_mul_u64_e32 v[10:11], s[16:17], v[2:3]
	v_cmp_gt_i32_e32 vcc_lo, s26, v0
	s_add_nc_u64 s[6:7], s[4:5], s[28:29]
	v_mad_nc_u64_u32 v[4:5], v0, s8, v[0:1]
	v_mul_u64_e32 v[6:7], s[16:17], v[0:1]
	v_lshlrev_b64_e32 v[12:13], 3, v[0:1]
	s_lshl_b64 s[14:15], s[16:17], 7
	s_lshl_b64 s[16:17], s[10:11], 3
	s_delay_alu instid0(VALU_DEP_3) | instskip(SKIP_3) | instid1(VALU_DEP_2)
	v_mad_u32 v3, v1, s8, v5
	v_mul_u32_u24_e32 v1, s27, v2
	s_and_b32 s27, s0, vcc_lo
	v_cmp_gt_i32_e64 s0, s26, v2
	v_lshl_add_u32 v1, v1, 3, v16
	s_delay_alu instid0(VALU_DEP_4) | instskip(SKIP_4) | instid1(VALU_DEP_3)
	v_mad_u32 v5, v0, s9, v3
	v_lshlrev_b32_e32 v3, 9, v2
	s_lshl_b64 s[8:9], s[8:9], 7
	v_lshl_add_u64 v[8:9], v[8:9], 3, s[28:29]
	v_lshl_add_u64 v[10:11], v[10:11], 3, s[12:13]
	v_add_nc_u32_e32 v3, v16, v3
	s_delay_alu instid0(VALU_DEP_3) | instskip(SKIP_2) | instid1(VALU_DEP_2)
	v_add_nc_u64_e32 v[14:15], v[8:9], v[12:13]
	s_wait_kmcnt 0x0
	v_add_nc_u64_e32 v[8:9], s[20:21], v[12:13]
	v_add_nc_u64_e32 v[12:13], s[4:5], v[14:15]
	s_lshl_b64 s[4:5], s[18:19], 3
	s_branch .LBB15_3
.LBB15_2:                               ;   in Loop: Header=BB15_3 Depth=1
	s_wait_xcnt 0x0
	s_or_b32 exec_lo, exec_lo, s2
	s_add_co_i32 s24, s24, 0x10000
	s_delay_alu instid0(SALU_CYCLE_1)
	s_cmp_lt_u32 s24, s3
	s_cbranch_scc0 .LBB15_14
.LBB15_3:                               ; =>This Loop Header: Depth=1
                                        ;     Child Loop BB15_8 Depth 2
	v_mov_b64_e32 v[14:15], 0
	s_and_saveexec_b32 s2, s27
	s_cbranch_execz .LBB15_5
; %bb.4:                                ;   in Loop: Header=BB15_3 Depth=1
	s_mul_u64 s[20:21], s[10:11], s[24:25]
	s_mul_u64 s[28:29], s[18:19], s[24:25]
	s_lshl_b64 s[20:21], s[20:21], 3
	s_lshl_b64 s[28:29], s[28:29], 3
	s_add_nc_u64 s[20:21], s[6:7], s[20:21]
	s_add_nc_u64 s[28:29], s[12:13], s[28:29]
	v_lshl_add_u64 v[14:15], v[4:5], 3, s[20:21]
	v_lshl_add_u64 v[16:17], v[6:7], 3, s[28:29]
	global_load_b64 v[18:19], v[14:15], off
	global_load_b64 v[20:21], v[16:17], off
	s_wait_loadcnt 0x0
	s_wait_xcnt 0x1
	v_mul_f64_e32 v[14:15], v[18:19], v[20:21]
.LBB15_5:                               ;   in Loop: Header=BB15_3 Depth=1
	s_wait_xcnt 0x0
	s_or_b32 exec_lo, exec_lo, s2
	s_and_saveexec_b32 s20, s0
	s_cbranch_execz .LBB15_11
; %bb.6:                                ;   in Loop: Header=BB15_3 Depth=1
	v_mad_nc_u64_u32 v[16:17], s4, s24, v[10:11]
	v_mad_nc_u64_u32 v[18:19], s16, s24, v[12:13]
	v_mov_b32_e32 v20, v2
	s_mov_b32 s21, 0
	s_delay_alu instid0(VALU_DEP_3) | instskip(NEXT) | instid1(VALU_DEP_3)
	v_mad_u32 v17, s5, s24, v17
	v_mad_u32 v19, s17, s24, v19
	s_branch .LBB15_8
.LBB15_7:                               ;   in Loop: Header=BB15_8 Depth=2
	s_wait_xcnt 0x0
	s_or_b32 exec_lo, exec_lo, s28
	v_add_nc_u32_e32 v20, 16, v20
	s_delay_alu instid0(VALU_DEP_4) | instskip(NEXT) | instid1(VALU_DEP_4)
	v_add_nc_u64_e32 v[16:17], s[14:15], v[16:17]
	v_add_nc_u64_e32 v[18:19], s[8:9], v[18:19]
	s_delay_alu instid0(VALU_DEP_3) | instskip(SKIP_1) | instid1(SALU_CYCLE_1)
	v_cmp_le_i32_e64 s2, s26, v20
	s_or_b32 s21, s2, s21
	s_and_not1_b32 exec_lo, exec_lo, s21
	s_cbranch_execz .LBB15_10
.LBB15_8:                               ;   Parent Loop BB15_3 Depth=1
                                        ; =>  This Inner Loop Header: Depth=2
	s_mov_b32 s28, exec_lo
	v_cmpx_gt_i32_e64 v20, v0
	s_cbranch_execz .LBB15_7
; %bb.9:                                ;   in Loop: Header=BB15_8 Depth=2
	global_load_b64 v[22:23], v[18:19], off
	global_load_b64 v[24:25], v[16:17], off
	s_wait_loadcnt 0x0
	v_fmac_f64_e32 v[14:15], v[22:23], v[24:25]
	s_branch .LBB15_7
.LBB15_10:                              ;   in Loop: Header=BB15_3 Depth=1
	s_or_b32 exec_lo, exec_lo, s21
.LBB15_11:                              ;   in Loop: Header=BB15_3 Depth=1
	s_delay_alu instid0(SALU_CYCLE_1)
	s_or_b32 exec_lo, exec_lo, s20
	ds_store_b64 v3, v[14:15]
	s_wait_dscnt 0x0
	s_barrier_signal -1
	s_barrier_wait -1
	s_and_saveexec_b32 s2, s1
	s_cbranch_execz .LBB15_2
; %bb.12:                               ;   in Loop: Header=BB15_3 Depth=1
	ds_load_2addr_stride64_b64 v[14:17], v1 offset1:1
	ds_load_2addr_stride64_b64 v[18:21], v1 offset0:2 offset1:3
	s_wait_dscnt 0x1
	v_add_f64_e32 v[14:15], v[14:15], v[16:17]
	s_wait_dscnt 0x0
	s_delay_alu instid0(VALU_DEP_1) | instskip(NEXT) | instid1(VALU_DEP_1)
	v_add_f64_e32 v[14:15], v[18:19], v[14:15]
	v_add_f64_e32 v[22:23], v[20:21], v[14:15]
	ds_load_2addr_stride64_b64 v[14:17], v1 offset0:4 offset1:5
	ds_load_2addr_stride64_b64 v[18:21], v1 offset0:6 offset1:7
	s_wait_dscnt 0x1
	v_add_f64_e32 v[14:15], v[14:15], v[22:23]
	s_delay_alu instid0(VALU_DEP_1) | instskip(SKIP_1) | instid1(VALU_DEP_1)
	v_add_f64_e32 v[14:15], v[16:17], v[14:15]
	s_wait_dscnt 0x0
	v_add_f64_e32 v[14:15], v[18:19], v[14:15]
	s_delay_alu instid0(VALU_DEP_1) | instskip(SKIP_4) | instid1(VALU_DEP_1)
	v_add_f64_e32 v[22:23], v[20:21], v[14:15]
	ds_load_2addr_stride64_b64 v[14:17], v1 offset0:8 offset1:9
	ds_load_2addr_stride64_b64 v[18:21], v1 offset0:10 offset1:11
	s_wait_dscnt 0x1
	v_add_f64_e32 v[14:15], v[14:15], v[22:23]
	v_add_f64_e32 v[14:15], v[16:17], v[14:15]
	s_wait_dscnt 0x0
	s_delay_alu instid0(VALU_DEP_1) | instskip(NEXT) | instid1(VALU_DEP_1)
	v_add_f64_e32 v[14:15], v[18:19], v[14:15]
	v_add_f64_e32 v[22:23], v[20:21], v[14:15]
	ds_load_2addr_stride64_b64 v[14:17], v1 offset0:12 offset1:13
	ds_load_2addr_stride64_b64 v[18:21], v1 offset0:14 offset1:15
	s_wait_dscnt 0x1
	v_add_f64_e32 v[14:15], v[14:15], v[22:23]
	s_delay_alu instid0(VALU_DEP_1) | instskip(SKIP_1) | instid1(VALU_DEP_1)
	v_add_f64_e32 v[14:15], v[16:17], v[14:15]
	s_wait_dscnt 0x0
	v_add_f64_e32 v[14:15], v[18:19], v[14:15]
	s_delay_alu instid0(VALU_DEP_1)
	v_add_f64_e32 v[14:15], v[20:21], v[14:15]
	ds_store_b64 v1, v[14:15]
	s_and_b32 exec_lo, exec_lo, vcc_lo
	s_cbranch_execz .LBB15_2
; %bb.13:                               ;   in Loop: Header=BB15_3 Depth=1
	s_mul_u64 s[20:21], s[22:23], s[24:25]
	s_delay_alu instid0(SALU_CYCLE_1)
	v_lshl_add_u64 v[16:17], s[20:21], 3, v[8:9]
	global_store_b64 v[16:17], v[14:15], off
	s_branch .LBB15_2
.LBB15_14:
	s_endpgm
	.section	.rodata,"a",@progbits
	.p2align	6, 0x0
	.amdhsa_kernel _ZL20rocblas_trmvn_kernelILi64ELi16ELb0ELb0EPKdPdS2_EviT3_lllT4_lllT5_li
		.amdhsa_group_segment_fixed_size 8192
		.amdhsa_private_segment_fixed_size 0
		.amdhsa_kernarg_size 352
		.amdhsa_user_sgpr_count 2
		.amdhsa_user_sgpr_dispatch_ptr 0
		.amdhsa_user_sgpr_queue_ptr 0
		.amdhsa_user_sgpr_kernarg_segment_ptr 1
		.amdhsa_user_sgpr_dispatch_id 0
		.amdhsa_user_sgpr_kernarg_preload_length 0
		.amdhsa_user_sgpr_kernarg_preload_offset 0
		.amdhsa_user_sgpr_private_segment_size 0
		.amdhsa_wavefront_size32 1
		.amdhsa_uses_dynamic_stack 0
		.amdhsa_enable_private_segment 0
		.amdhsa_system_sgpr_workgroup_id_x 1
		.amdhsa_system_sgpr_workgroup_id_y 0
		.amdhsa_system_sgpr_workgroup_id_z 1
		.amdhsa_system_sgpr_workgroup_info 0
		.amdhsa_system_vgpr_workitem_id 1
		.amdhsa_next_free_vgpr 26
		.amdhsa_next_free_sgpr 30
		.amdhsa_named_barrier_count 0
		.amdhsa_reserve_vcc 1
		.amdhsa_float_round_mode_32 0
		.amdhsa_float_round_mode_16_64 0
		.amdhsa_float_denorm_mode_32 3
		.amdhsa_float_denorm_mode_16_64 3
		.amdhsa_fp16_overflow 0
		.amdhsa_memory_ordered 1
		.amdhsa_forward_progress 1
		.amdhsa_inst_pref_size 8
		.amdhsa_round_robin_scheduling 0
		.amdhsa_exception_fp_ieee_invalid_op 0
		.amdhsa_exception_fp_denorm_src 0
		.amdhsa_exception_fp_ieee_div_zero 0
		.amdhsa_exception_fp_ieee_overflow 0
		.amdhsa_exception_fp_ieee_underflow 0
		.amdhsa_exception_fp_ieee_inexact 0
		.amdhsa_exception_int_div_zero 0
	.end_amdhsa_kernel
	.section	.text._ZL20rocblas_trmvn_kernelILi64ELi16ELb0ELb0EPKdPdS2_EviT3_lllT4_lllT5_li,"axG",@progbits,_ZL20rocblas_trmvn_kernelILi64ELi16ELb0ELb0EPKdPdS2_EviT3_lllT4_lllT5_li,comdat
.Lfunc_end15:
	.size	_ZL20rocblas_trmvn_kernelILi64ELi16ELb0ELb0EPKdPdS2_EviT3_lllT4_lllT5_li, .Lfunc_end15-_ZL20rocblas_trmvn_kernelILi64ELi16ELb0ELb0EPKdPdS2_EviT3_lllT4_lllT5_li
                                        ; -- End function
	.set _ZL20rocblas_trmvn_kernelILi64ELi16ELb0ELb0EPKdPdS2_EviT3_lllT4_lllT5_li.num_vgpr, 26
	.set _ZL20rocblas_trmvn_kernelILi64ELi16ELb0ELb0EPKdPdS2_EviT3_lllT4_lllT5_li.num_agpr, 0
	.set _ZL20rocblas_trmvn_kernelILi64ELi16ELb0ELb0EPKdPdS2_EviT3_lllT4_lllT5_li.numbered_sgpr, 30
	.set _ZL20rocblas_trmvn_kernelILi64ELi16ELb0ELb0EPKdPdS2_EviT3_lllT4_lllT5_li.num_named_barrier, 0
	.set _ZL20rocblas_trmvn_kernelILi64ELi16ELb0ELb0EPKdPdS2_EviT3_lllT4_lllT5_li.private_seg_size, 0
	.set _ZL20rocblas_trmvn_kernelILi64ELi16ELb0ELb0EPKdPdS2_EviT3_lllT4_lllT5_li.uses_vcc, 1
	.set _ZL20rocblas_trmvn_kernelILi64ELi16ELb0ELb0EPKdPdS2_EviT3_lllT4_lllT5_li.uses_flat_scratch, 0
	.set _ZL20rocblas_trmvn_kernelILi64ELi16ELb0ELb0EPKdPdS2_EviT3_lllT4_lllT5_li.has_dyn_sized_stack, 0
	.set _ZL20rocblas_trmvn_kernelILi64ELi16ELb0ELb0EPKdPdS2_EviT3_lllT4_lllT5_li.has_recursion, 0
	.set _ZL20rocblas_trmvn_kernelILi64ELi16ELb0ELb0EPKdPdS2_EviT3_lllT4_lllT5_li.has_indirect_call, 0
	.section	.AMDGPU.csdata,"",@progbits
; Kernel info:
; codeLenInByte = 920
; TotalNumSgprs: 32
; NumVgprs: 26
; ScratchSize: 0
; MemoryBound: 1
; FloatMode: 240
; IeeeMode: 1
; LDSByteSize: 8192 bytes/workgroup (compile time only)
; SGPRBlocks: 0
; VGPRBlocks: 1
; NumSGPRsForWavesPerEU: 32
; NumVGPRsForWavesPerEU: 26
; NamedBarCnt: 0
; Occupancy: 16
; WaveLimiterHint : 0
; COMPUTE_PGM_RSRC2:SCRATCH_EN: 0
; COMPUTE_PGM_RSRC2:USER_SGPR: 2
; COMPUTE_PGM_RSRC2:TRAP_HANDLER: 0
; COMPUTE_PGM_RSRC2:TGID_X_EN: 1
; COMPUTE_PGM_RSRC2:TGID_Y_EN: 0
; COMPUTE_PGM_RSRC2:TGID_Z_EN: 1
; COMPUTE_PGM_RSRC2:TIDIG_COMP_CNT: 1
	.section	.text._ZL20rocblas_trmvt_kernelILi512ELb0ELb0ELb0EPKdPdS2_EviT3_lllT4_lllT5_li,"axG",@progbits,_ZL20rocblas_trmvt_kernelILi512ELb0ELb0ELb0EPKdPdS2_EviT3_lllT4_lllT5_li,comdat
	.globl	_ZL20rocblas_trmvt_kernelILi512ELb0ELb0ELb0EPKdPdS2_EviT3_lllT4_lllT5_li ; -- Begin function _ZL20rocblas_trmvt_kernelILi512ELb0ELb0ELb0EPKdPdS2_EviT3_lllT4_lllT5_li
	.p2align	8
	.type	_ZL20rocblas_trmvt_kernelILi512ELb0ELb0ELb0EPKdPdS2_EviT3_lllT4_lllT5_li,@function
_ZL20rocblas_trmvt_kernelILi512ELb0ELb0ELb0EPKdPdS2_EviT3_lllT4_lllT5_li: ; @_ZL20rocblas_trmvt_kernelILi512ELb0ELb0ELb0EPKdPdS2_EviT3_lllT4_lllT5_li
; %bb.0:
	s_load_b32 s28, s[0:1], 0x58
	s_bfe_u32 s2, ttmp6, 0x40014
	s_lshr_b32 s3, ttmp7, 16
	s_add_co_i32 s2, s2, 1
	s_bfe_u32 s5, ttmp6, 0x40008
	s_mul_i32 s4, s3, s2
	s_getreg_b32 s2, hwreg(HW_REG_IB_STS2, 6, 4)
	s_add_co_i32 s5, s5, s4
	s_cmp_eq_u32 s2, 0
	s_mov_b32 s25, 0
	s_cselect_b32 s24, s3, s5
	s_wait_kmcnt 0x0
	s_cmp_ge_u32 s24, s28
	s_cbranch_scc1 .LBB16_21
; %bb.1:
	s_clause 0x2
	s_load_b32 s29, s[0:1], 0x0
	s_load_b512 s[4:19], s[0:1], 0x8
	s_load_b128 s[20:23], s[0:1], 0x48
	v_mbcnt_lo_u32_b32 v7, -1, 0
	s_wait_xcnt 0x0
	s_bfe_u32 s0, ttmp6, 0x4000c
	v_dual_mov_b32 v3, 0 :: v_dual_bitop2_b32 v6, 31, v0 bitop3:0x40
	s_add_co_i32 s1, s0, 1
	s_and_b32 s3, ttmp6, 15
	s_mul_i32 s26, ttmp9, s1
	v_cmp_gt_u32_e64 s1, 24, v7
	v_dual_mov_b32 v1, v3 :: v_dual_lshlrev_b32 v18, 3, v6
	s_add_co_i32 s3, s3, s26
	v_lshl_or_b32 v19, v7, 2, 64
	v_cndmask_b32_e64 v8, 0, 8, s1
	v_cmp_gt_u32_e64 s0, 32, v0
	v_cmp_eq_u32_e32 vcc_lo, 0, v0
	s_wait_kmcnt 0x0
	v_cmp_gt_i32_e64 s1, s29, v0
	v_mul_u64_e32 v[10:11], s[16:17], v[0:1]
	s_lshl_b64 s[14:15], s[14:15], 3
	s_lshl_b64 s[26:27], s[6:7], 3
	s_cmp_eq_u32 s2, 0
	v_cndmask_b32_e64 v2, 0, v0, s1
	v_cmp_gt_u32_e64 s2, 28, v7
	v_add_lshl_u32 v1, v8, v7, 2
	v_lshrrev_b32_e32 v8, 2, v0
	s_cselect_b32 s6, ttmp9, s3
	v_lshlrev_b32_e32 v2, 3, v2
	v_cndmask_b32_e64 v9, 0, 4, s2
	s_add_nc_u64 s[2:3], s[4:5], s[26:27]
	s_ashr_i32 s7, s6, 31
	v_and_b32_e32 v23, 0x78, v8
	v_add_nc_u64_e32 v[4:5], s[2:3], v[2:3]
	v_cmp_gt_u32_e64 s2, 30, v7
	v_add_lshl_u32 v20, v9, v7, 2
	v_mov_b64_e32 v[8:9], 0
	s_mul_u64 s[30:31], s[16:17], s[6:7]
	s_lshl_b64 s[16:17], s[16:17], 12
	v_cndmask_b32_e64 v12, 0, 2, s2
	s_mul_u64 s[2:3], s[8:9], s[6:7]
	s_add_nc_u64 s[8:9], s[12:13], s[14:15]
	s_lshl_b64 s[12:13], s[2:3], 3
	v_cmp_ne_u32_e64 s2, 31, v7
	v_add_nc_u64_e32 v[4:5], s[12:13], v[4:5]
	s_add_nc_u64 s[12:13], s[12:13], s[26:27]
	v_add_lshl_u32 v21, v12, v7, 2
	s_add_nc_u64 s[4:5], s[4:5], s[12:13]
	v_add_co_ci_u32_e64 v13, null, 0, v7, s2
	v_cmp_eq_u32_e64 s2, 0, v6
	v_cmp_gt_u32_e64 s3, 16, v0
	v_lshl_add_u64 v[10:11], v[10:11], 3, s[8:9]
	s_delay_alu instid0(VALU_DEP_4)
	v_lshlrev_b32_e32 v22, 2, v13
	v_add_nc_u64_e32 v[6:7], s[4:5], v[2:3]
	s_lshl_b64 s[14:15], s[6:7], 3
	s_lshl_b64 s[26:27], s[30:31], 3
	s_add_nc_u64 s[12:13], s[20:21], s[14:15]
	s_lshl_b64 s[14:15], s[10:11], 3
	s_lshl_b64 s[20:21], s[18:19], 3
	s_branch .LBB16_3
.LBB16_2:                               ;   in Loop: Header=BB16_3 Depth=1
	s_wait_xcnt 0x0
	s_or_b32 exec_lo, exec_lo, s4
	s_add_co_i32 s24, s24, 0x10000
	s_delay_alu instid0(SALU_CYCLE_1)
	s_cmp_lt_u32 s24, s28
	s_cbranch_scc0 .LBB16_21
.LBB16_3:                               ; =>This Loop Header: Depth=1
                                        ;     Child Loop BB16_15 Depth 2
	s_wait_dscnt 0x0
	v_mov_b64_e32 v[12:13], 0
	s_and_saveexec_b32 s4, vcc_lo
	s_cbranch_execnz .LBB16_12
; %bb.4:                                ;   in Loop: Header=BB16_3 Depth=1
	s_or_b32 exec_lo, exec_lo, s4
	s_and_saveexec_b32 s5, s1
	s_cbranch_execnz .LBB16_13
.LBB16_5:                               ;   in Loop: Header=BB16_3 Depth=1
	s_or_b32 exec_lo, exec_lo, s5
	s_and_saveexec_b32 s4, s0
.LBB16_6:                               ;   in Loop: Header=BB16_3 Depth=1
	ds_store_b64 v18, v[8:9]
.LBB16_7:                               ;   in Loop: Header=BB16_3 Depth=1
	s_or_b32 exec_lo, exec_lo, s4
	ds_bpermute_b32 v14, v19, v12
	ds_bpermute_b32 v15, v19, v13
	s_wait_dscnt 0x0
	s_barrier_signal -1
	s_barrier_wait -1
	v_add_f64_e32 v[12:13], v[12:13], v[14:15]
	ds_bpermute_b32 v14, v1, v12
	ds_bpermute_b32 v15, v1, v13
	s_wait_dscnt 0x0
	v_add_f64_e32 v[12:13], v[12:13], v[14:15]
	ds_bpermute_b32 v14, v20, v12
	ds_bpermute_b32 v15, v20, v13
	s_wait_dscnt 0x0
	;; [unrolled: 4-line block ×3, first 2 shown]
	v_add_f64_e32 v[12:13], v[12:13], v[14:15]
	ds_bpermute_b32 v14, v22, v12
	ds_bpermute_b32 v15, v22, v13
	s_and_saveexec_b32 s4, s2
	s_cbranch_execz .LBB16_9
; %bb.8:                                ;   in Loop: Header=BB16_3 Depth=1
	s_wait_dscnt 0x0
	v_add_f64_e32 v[12:13], v[12:13], v[14:15]
	ds_store_b64 v23, v[12:13]
.LBB16_9:                               ;   in Loop: Header=BB16_3 Depth=1
	s_or_b32 exec_lo, exec_lo, s4
	v_mov_b64_e32 v[12:13], 0
	s_wait_dscnt 0x0
	s_barrier_signal -1
	s_barrier_wait -1
	s_and_saveexec_b32 s4, s3
	s_cbranch_execnz .LBB16_17
; %bb.10:                               ;   in Loop: Header=BB16_3 Depth=1
	s_or_b32 exec_lo, exec_lo, s4
	s_and_saveexec_b32 s4, s0
	s_cbranch_execnz .LBB16_18
.LBB16_11:                              ;   in Loop: Header=BB16_3 Depth=1
	s_or_b32 exec_lo, exec_lo, s4
	s_and_saveexec_b32 s4, vcc_lo
	s_cbranch_execz .LBB16_2
	s_branch .LBB16_19
.LBB16_12:                              ;   in Loop: Header=BB16_3 Depth=1
	s_mul_u64 s[30:31], s[10:11], s[24:25]
	s_delay_alu instid0(SALU_CYCLE_1) | instskip(SKIP_1) | instid1(SALU_CYCLE_1)
	v_lshl_add_u64 v[12:13], s[30:31], 3, v[4:5]
	s_mul_u64 s[30:31], s[18:19], s[24:25]
	s_lshl_b64 s[30:31], s[30:31], 3
	s_delay_alu instid0(SALU_CYCLE_1) | instskip(NEXT) | instid1(VALU_DEP_1)
	s_add_nc_u64 s[30:31], s[8:9], s[30:31]
	v_lshl_add_u64 v[12:13], s[6:7], 3, v[12:13]
	s_add_nc_u64 s[30:31], s[30:31], s[26:27]
	global_load_b64 v[14:15], v[12:13], off
	global_load_b64 v[16:17], v3, s[30:31]
	s_wait_loadcnt 0x0
	s_wait_xcnt 0x1
	v_fma_f64 v[12:13], v[14:15], v[16:17], 0
	s_wait_xcnt 0x0
	s_or_b32 exec_lo, exec_lo, s4
	s_and_saveexec_b32 s5, s1
	s_cbranch_execz .LBB16_5
.LBB16_13:                              ;   in Loop: Header=BB16_3 Depth=1
	v_mad_nc_u64_u32 v[14:15], s14, s24, v[6:7]
	v_mad_nc_u64_u32 v[16:17], s20, s24, v[10:11]
	v_mov_b32_e32 v2, v0
	s_mov_b32 s30, 0
	s_delay_alu instid0(VALU_DEP_3) | instskip(NEXT) | instid1(VALU_DEP_3)
	v_mad_u32 v15, s15, s24, v15
	v_mad_u32 v17, s21, s24, v17
	s_branch .LBB16_15
.LBB16_14:                              ;   in Loop: Header=BB16_15 Depth=2
	s_wait_xcnt 0x0
	s_or_b32 exec_lo, exec_lo, s31
	v_add_nc_u32_e32 v2, 0x200, v2
	s_delay_alu instid0(VALU_DEP_4) | instskip(NEXT) | instid1(VALU_DEP_4)
	v_add_nc_u64_e32 v[14:15], 0x1000, v[14:15]
	v_add_nc_u64_e32 v[16:17], s[16:17], v[16:17]
	s_delay_alu instid0(VALU_DEP_3) | instskip(SKIP_1) | instid1(SALU_CYCLE_1)
	v_cmp_le_i32_e64 s4, s29, v2
	s_or_b32 s30, s4, s30
	s_and_not1_b32 exec_lo, exec_lo, s30
	s_cbranch_execz .LBB16_20
.LBB16_15:                              ;   Parent Loop BB16_3 Depth=1
                                        ; =>  This Inner Loop Header: Depth=2
	s_mov_b32 s31, exec_lo
	v_cmpx_gt_i32_e64 s6, v2
	s_cbranch_execz .LBB16_14
; %bb.16:                               ;   in Loop: Header=BB16_15 Depth=2
	global_load_b64 v[24:25], v[14:15], off
	global_load_b64 v[26:27], v[16:17], off
	s_wait_loadcnt 0x0
	v_fmac_f64_e32 v[12:13], v[24:25], v[26:27]
	s_branch .LBB16_14
.LBB16_17:                              ;   in Loop: Header=BB16_3 Depth=1
	ds_load_b64 v[12:13], v18
	s_or_b32 exec_lo, exec_lo, s4
	s_and_saveexec_b32 s4, s0
	s_cbranch_execz .LBB16_11
.LBB16_18:                              ;   in Loop: Header=BB16_3 Depth=1
	s_wait_dscnt 0x0
	ds_bpermute_b32 v14, v1, v12
	ds_bpermute_b32 v15, v1, v13
	s_wait_dscnt 0x0
	v_add_f64_e32 v[12:13], v[12:13], v[14:15]
	ds_bpermute_b32 v14, v20, v12
	ds_bpermute_b32 v15, v20, v13
	s_wait_dscnt 0x0
	v_add_f64_e32 v[12:13], v[12:13], v[14:15]
	;; [unrolled: 4-line block ×4, first 2 shown]
	s_or_b32 exec_lo, exec_lo, s4
	s_and_saveexec_b32 s4, vcc_lo
	s_cbranch_execz .LBB16_2
.LBB16_19:                              ;   in Loop: Header=BB16_3 Depth=1
	s_mul_u64 s[30:31], s[22:23], s[24:25]
	s_delay_alu instid0(SALU_CYCLE_1) | instskip(NEXT) | instid1(SALU_CYCLE_1)
	s_lshl_b64 s[30:31], s[30:31], 3
	s_add_nc_u64 s[30:31], s[12:13], s[30:31]
	s_wait_dscnt 0x0
	global_store_b64 v3, v[12:13], s[30:31]
	s_branch .LBB16_2
.LBB16_20:                              ;   in Loop: Header=BB16_3 Depth=1
	s_or_b32 exec_lo, exec_lo, s30
	s_delay_alu instid0(SALU_CYCLE_1)
	s_or_b32 exec_lo, exec_lo, s5
	s_and_saveexec_b32 s4, s0
	s_cbranch_execnz .LBB16_6
	s_branch .LBB16_7
.LBB16_21:
	s_endpgm
	.section	.rodata,"a",@progbits
	.p2align	6, 0x0
	.amdhsa_kernel _ZL20rocblas_trmvt_kernelILi512ELb0ELb0ELb0EPKdPdS2_EviT3_lllT4_lllT5_li
		.amdhsa_group_segment_fixed_size 256
		.amdhsa_private_segment_fixed_size 0
		.amdhsa_kernarg_size 92
		.amdhsa_user_sgpr_count 2
		.amdhsa_user_sgpr_dispatch_ptr 0
		.amdhsa_user_sgpr_queue_ptr 0
		.amdhsa_user_sgpr_kernarg_segment_ptr 1
		.amdhsa_user_sgpr_dispatch_id 0
		.amdhsa_user_sgpr_kernarg_preload_length 0
		.amdhsa_user_sgpr_kernarg_preload_offset 0
		.amdhsa_user_sgpr_private_segment_size 0
		.amdhsa_wavefront_size32 1
		.amdhsa_uses_dynamic_stack 0
		.amdhsa_enable_private_segment 0
		.amdhsa_system_sgpr_workgroup_id_x 1
		.amdhsa_system_sgpr_workgroup_id_y 0
		.amdhsa_system_sgpr_workgroup_id_z 1
		.amdhsa_system_sgpr_workgroup_info 0
		.amdhsa_system_vgpr_workitem_id 0
		.amdhsa_next_free_vgpr 28
		.amdhsa_next_free_sgpr 32
		.amdhsa_named_barrier_count 0
		.amdhsa_reserve_vcc 1
		.amdhsa_float_round_mode_32 0
		.amdhsa_float_round_mode_16_64 0
		.amdhsa_float_denorm_mode_32 3
		.amdhsa_float_denorm_mode_16_64 3
		.amdhsa_fp16_overflow 0
		.amdhsa_memory_ordered 1
		.amdhsa_forward_progress 1
		.amdhsa_inst_pref_size 9
		.amdhsa_round_robin_scheduling 0
		.amdhsa_exception_fp_ieee_invalid_op 0
		.amdhsa_exception_fp_denorm_src 0
		.amdhsa_exception_fp_ieee_div_zero 0
		.amdhsa_exception_fp_ieee_overflow 0
		.amdhsa_exception_fp_ieee_underflow 0
		.amdhsa_exception_fp_ieee_inexact 0
		.amdhsa_exception_int_div_zero 0
	.end_amdhsa_kernel
	.section	.text._ZL20rocblas_trmvt_kernelILi512ELb0ELb0ELb0EPKdPdS2_EviT3_lllT4_lllT5_li,"axG",@progbits,_ZL20rocblas_trmvt_kernelILi512ELb0ELb0ELb0EPKdPdS2_EviT3_lllT4_lllT5_li,comdat
.Lfunc_end16:
	.size	_ZL20rocblas_trmvt_kernelILi512ELb0ELb0ELb0EPKdPdS2_EviT3_lllT4_lllT5_li, .Lfunc_end16-_ZL20rocblas_trmvt_kernelILi512ELb0ELb0ELb0EPKdPdS2_EviT3_lllT4_lllT5_li
                                        ; -- End function
	.set _ZL20rocblas_trmvt_kernelILi512ELb0ELb0ELb0EPKdPdS2_EviT3_lllT4_lllT5_li.num_vgpr, 28
	.set _ZL20rocblas_trmvt_kernelILi512ELb0ELb0ELb0EPKdPdS2_EviT3_lllT4_lllT5_li.num_agpr, 0
	.set _ZL20rocblas_trmvt_kernelILi512ELb0ELb0ELb0EPKdPdS2_EviT3_lllT4_lllT5_li.numbered_sgpr, 32
	.set _ZL20rocblas_trmvt_kernelILi512ELb0ELb0ELb0EPKdPdS2_EviT3_lllT4_lllT5_li.num_named_barrier, 0
	.set _ZL20rocblas_trmvt_kernelILi512ELb0ELb0ELb0EPKdPdS2_EviT3_lllT4_lllT5_li.private_seg_size, 0
	.set _ZL20rocblas_trmvt_kernelILi512ELb0ELb0ELb0EPKdPdS2_EviT3_lllT4_lllT5_li.uses_vcc, 1
	.set _ZL20rocblas_trmvt_kernelILi512ELb0ELb0ELb0EPKdPdS2_EviT3_lllT4_lllT5_li.uses_flat_scratch, 0
	.set _ZL20rocblas_trmvt_kernelILi512ELb0ELb0ELb0EPKdPdS2_EviT3_lllT4_lllT5_li.has_dyn_sized_stack, 0
	.set _ZL20rocblas_trmvt_kernelILi512ELb0ELb0ELb0EPKdPdS2_EviT3_lllT4_lllT5_li.has_recursion, 0
	.set _ZL20rocblas_trmvt_kernelILi512ELb0ELb0ELb0EPKdPdS2_EviT3_lllT4_lllT5_li.has_indirect_call, 0
	.section	.AMDGPU.csdata,"",@progbits
; Kernel info:
; codeLenInByte = 1152
; TotalNumSgprs: 34
; NumVgprs: 28
; ScratchSize: 0
; MemoryBound: 1
; FloatMode: 240
; IeeeMode: 1
; LDSByteSize: 256 bytes/workgroup (compile time only)
; SGPRBlocks: 0
; VGPRBlocks: 1
; NumSGPRsForWavesPerEU: 34
; NumVGPRsForWavesPerEU: 28
; NamedBarCnt: 0
; Occupancy: 16
; WaveLimiterHint : 0
; COMPUTE_PGM_RSRC2:SCRATCH_EN: 0
; COMPUTE_PGM_RSRC2:USER_SGPR: 2
; COMPUTE_PGM_RSRC2:TRAP_HANDLER: 0
; COMPUTE_PGM_RSRC2:TGID_X_EN: 1
; COMPUTE_PGM_RSRC2:TGID_Y_EN: 0
; COMPUTE_PGM_RSRC2:TGID_Z_EN: 1
; COMPUTE_PGM_RSRC2:TIDIG_COMP_CNT: 0
	.section	.text._ZL20rocblas_trmvt_kernelILi512ELb0ELb1ELb0EPKdPdS2_EviT3_lllT4_lllT5_li,"axG",@progbits,_ZL20rocblas_trmvt_kernelILi512ELb0ELb1ELb0EPKdPdS2_EviT3_lllT4_lllT5_li,comdat
	.globl	_ZL20rocblas_trmvt_kernelILi512ELb0ELb1ELb0EPKdPdS2_EviT3_lllT4_lllT5_li ; -- Begin function _ZL20rocblas_trmvt_kernelILi512ELb0ELb1ELb0EPKdPdS2_EviT3_lllT4_lllT5_li
	.p2align	8
	.type	_ZL20rocblas_trmvt_kernelILi512ELb0ELb1ELb0EPKdPdS2_EviT3_lllT4_lllT5_li,@function
_ZL20rocblas_trmvt_kernelILi512ELb0ELb1ELb0EPKdPdS2_EviT3_lllT4_lllT5_li: ; @_ZL20rocblas_trmvt_kernelILi512ELb0ELb1ELb0EPKdPdS2_EviT3_lllT4_lllT5_li
; %bb.0:
	s_load_b32 s28, s[0:1], 0x58
	s_bfe_u32 s2, ttmp6, 0x40014
	s_lshr_b32 s3, ttmp7, 16
	s_add_co_i32 s2, s2, 1
	s_bfe_u32 s5, ttmp6, 0x40008
	s_mul_i32 s4, s3, s2
	s_getreg_b32 s2, hwreg(HW_REG_IB_STS2, 6, 4)
	s_add_co_i32 s5, s5, s4
	s_cmp_eq_u32 s2, 0
	s_mov_b32 s25, 0
	s_cselect_b32 s24, s3, s5
	s_wait_kmcnt 0x0
	s_cmp_ge_u32 s24, s28
	s_cbranch_scc1 .LBB17_21
; %bb.1:
	s_clause 0x2
	s_load_b32 s29, s[0:1], 0x0
	s_load_b512 s[4:19], s[0:1], 0x8
	s_load_b128 s[20:23], s[0:1], 0x48
	v_mbcnt_lo_u32_b32 v7, -1, 0
	s_wait_xcnt 0x0
	s_bfe_u32 s0, ttmp6, 0x4000c
	v_dual_mov_b32 v3, 0 :: v_dual_bitop2_b32 v6, 31, v0 bitop3:0x40
	s_add_co_i32 s1, s0, 1
	s_and_b32 s3, ttmp6, 15
	s_mul_i32 s26, ttmp9, s1
	v_cmp_gt_u32_e64 s1, 24, v7
	v_dual_mov_b32 v1, v3 :: v_dual_lshlrev_b32 v18, 3, v6
	s_add_co_i32 s3, s3, s26
	v_lshl_or_b32 v19, v7, 2, 64
	v_cndmask_b32_e64 v8, 0, 8, s1
	v_cmp_gt_u32_e64 s0, 32, v0
	v_cmp_eq_u32_e32 vcc_lo, 0, v0
	s_wait_kmcnt 0x0
	v_cmp_gt_i32_e64 s1, s29, v0
	v_mul_u64_e32 v[10:11], s[16:17], v[0:1]
	s_lshl_b64 s[14:15], s[14:15], 3
	s_lshl_b64 s[26:27], s[6:7], 3
	s_cmp_eq_u32 s2, 0
	v_cndmask_b32_e64 v2, 0, v0, s1
	v_cmp_gt_u32_e64 s2, 28, v7
	v_add_lshl_u32 v1, v8, v7, 2
	v_lshrrev_b32_e32 v8, 2, v0
	s_cselect_b32 s6, ttmp9, s3
	v_lshlrev_b32_e32 v2, 3, v2
	v_cndmask_b32_e64 v9, 0, 4, s2
	s_add_nc_u64 s[2:3], s[4:5], s[26:27]
	s_ashr_i32 s7, s6, 31
	v_and_b32_e32 v23, 0x78, v8
	v_add_nc_u64_e32 v[4:5], s[2:3], v[2:3]
	v_cmp_gt_u32_e64 s2, 30, v7
	v_add_lshl_u32 v20, v9, v7, 2
	v_mov_b64_e32 v[8:9], 0
	s_mul_u64 s[30:31], s[16:17], s[6:7]
	s_lshl_b64 s[16:17], s[16:17], 12
	v_cndmask_b32_e64 v12, 0, 2, s2
	s_mul_u64 s[2:3], s[8:9], s[6:7]
	s_add_nc_u64 s[8:9], s[12:13], s[14:15]
	s_lshl_b64 s[12:13], s[2:3], 3
	v_cmp_ne_u32_e64 s2, 31, v7
	v_add_nc_u64_e32 v[4:5], s[12:13], v[4:5]
	s_add_nc_u64 s[12:13], s[12:13], s[26:27]
	v_add_lshl_u32 v21, v12, v7, 2
	s_add_nc_u64 s[4:5], s[4:5], s[12:13]
	v_add_co_ci_u32_e64 v13, null, 0, v7, s2
	v_cmp_eq_u32_e64 s2, 0, v6
	v_cmp_gt_u32_e64 s3, 16, v0
	v_lshl_add_u64 v[10:11], v[10:11], 3, s[8:9]
	s_delay_alu instid0(VALU_DEP_4)
	v_lshlrev_b32_e32 v22, 2, v13
	v_add_nc_u64_e32 v[6:7], s[4:5], v[2:3]
	s_lshl_b64 s[14:15], s[6:7], 3
	s_lshl_b64 s[26:27], s[30:31], 3
	s_add_nc_u64 s[12:13], s[20:21], s[14:15]
	s_lshl_b64 s[14:15], s[10:11], 3
	s_lshl_b64 s[20:21], s[18:19], 3
	s_branch .LBB17_3
.LBB17_2:                               ;   in Loop: Header=BB17_3 Depth=1
	s_wait_xcnt 0x0
	s_or_b32 exec_lo, exec_lo, s4
	s_add_co_i32 s24, s24, 0x10000
	s_delay_alu instid0(SALU_CYCLE_1)
	s_cmp_lt_u32 s24, s28
	s_cbranch_scc0 .LBB17_21
.LBB17_3:                               ; =>This Loop Header: Depth=1
                                        ;     Child Loop BB17_15 Depth 2
	s_wait_dscnt 0x0
	v_mov_b64_e32 v[12:13], 0
	s_and_saveexec_b32 s4, vcc_lo
	s_cbranch_execnz .LBB17_12
; %bb.4:                                ;   in Loop: Header=BB17_3 Depth=1
	s_or_b32 exec_lo, exec_lo, s4
	s_and_saveexec_b32 s5, s1
	s_cbranch_execnz .LBB17_13
.LBB17_5:                               ;   in Loop: Header=BB17_3 Depth=1
	s_or_b32 exec_lo, exec_lo, s5
	s_and_saveexec_b32 s4, s0
.LBB17_6:                               ;   in Loop: Header=BB17_3 Depth=1
	ds_store_b64 v18, v[8:9]
.LBB17_7:                               ;   in Loop: Header=BB17_3 Depth=1
	s_or_b32 exec_lo, exec_lo, s4
	ds_bpermute_b32 v14, v19, v12
	ds_bpermute_b32 v15, v19, v13
	s_wait_dscnt 0x0
	s_barrier_signal -1
	s_barrier_wait -1
	v_add_f64_e32 v[12:13], v[12:13], v[14:15]
	ds_bpermute_b32 v14, v1, v12
	ds_bpermute_b32 v15, v1, v13
	s_wait_dscnt 0x0
	v_add_f64_e32 v[12:13], v[12:13], v[14:15]
	ds_bpermute_b32 v14, v20, v12
	ds_bpermute_b32 v15, v20, v13
	s_wait_dscnt 0x0
	;; [unrolled: 4-line block ×3, first 2 shown]
	v_add_f64_e32 v[12:13], v[12:13], v[14:15]
	ds_bpermute_b32 v14, v22, v12
	ds_bpermute_b32 v15, v22, v13
	s_and_saveexec_b32 s4, s2
	s_cbranch_execz .LBB17_9
; %bb.8:                                ;   in Loop: Header=BB17_3 Depth=1
	s_wait_dscnt 0x0
	v_add_f64_e32 v[12:13], v[12:13], v[14:15]
	ds_store_b64 v23, v[12:13]
.LBB17_9:                               ;   in Loop: Header=BB17_3 Depth=1
	s_or_b32 exec_lo, exec_lo, s4
	v_mov_b64_e32 v[12:13], 0
	s_wait_dscnt 0x0
	s_barrier_signal -1
	s_barrier_wait -1
	s_and_saveexec_b32 s4, s3
	s_cbranch_execnz .LBB17_17
; %bb.10:                               ;   in Loop: Header=BB17_3 Depth=1
	s_or_b32 exec_lo, exec_lo, s4
	s_and_saveexec_b32 s4, s0
	s_cbranch_execnz .LBB17_18
.LBB17_11:                              ;   in Loop: Header=BB17_3 Depth=1
	s_or_b32 exec_lo, exec_lo, s4
	s_and_saveexec_b32 s4, vcc_lo
	s_cbranch_execz .LBB17_2
	s_branch .LBB17_19
.LBB17_12:                              ;   in Loop: Header=BB17_3 Depth=1
	s_mul_u64 s[30:31], s[10:11], s[24:25]
	s_delay_alu instid0(SALU_CYCLE_1) | instskip(SKIP_1) | instid1(SALU_CYCLE_1)
	v_lshl_add_u64 v[12:13], s[30:31], 3, v[4:5]
	s_mul_u64 s[30:31], s[18:19], s[24:25]
	s_lshl_b64 s[30:31], s[30:31], 3
	s_delay_alu instid0(SALU_CYCLE_1) | instskip(NEXT) | instid1(VALU_DEP_1)
	s_add_nc_u64 s[30:31], s[8:9], s[30:31]
	v_lshl_add_u64 v[12:13], s[6:7], 3, v[12:13]
	s_add_nc_u64 s[30:31], s[30:31], s[26:27]
	global_load_b64 v[14:15], v[12:13], off
	global_load_b64 v[16:17], v3, s[30:31]
	s_wait_loadcnt 0x0
	s_wait_xcnt 0x1
	v_fma_f64 v[12:13], v[14:15], v[16:17], 0
	s_wait_xcnt 0x0
	s_or_b32 exec_lo, exec_lo, s4
	s_and_saveexec_b32 s5, s1
	s_cbranch_execz .LBB17_5
.LBB17_13:                              ;   in Loop: Header=BB17_3 Depth=1
	v_mad_nc_u64_u32 v[14:15], s14, s24, v[6:7]
	v_mad_nc_u64_u32 v[16:17], s20, s24, v[10:11]
	v_mov_b32_e32 v2, v0
	s_mov_b32 s30, 0
	s_delay_alu instid0(VALU_DEP_3) | instskip(NEXT) | instid1(VALU_DEP_3)
	v_mad_u32 v15, s15, s24, v15
	v_mad_u32 v17, s21, s24, v17
	s_branch .LBB17_15
.LBB17_14:                              ;   in Loop: Header=BB17_15 Depth=2
	s_wait_xcnt 0x0
	s_or_b32 exec_lo, exec_lo, s31
	v_add_nc_u32_e32 v2, 0x200, v2
	s_delay_alu instid0(VALU_DEP_4) | instskip(NEXT) | instid1(VALU_DEP_4)
	v_add_nc_u64_e32 v[14:15], 0x1000, v[14:15]
	v_add_nc_u64_e32 v[16:17], s[16:17], v[16:17]
	s_delay_alu instid0(VALU_DEP_3) | instskip(SKIP_1) | instid1(SALU_CYCLE_1)
	v_cmp_le_i32_e64 s4, s29, v2
	s_or_b32 s30, s4, s30
	s_and_not1_b32 exec_lo, exec_lo, s30
	s_cbranch_execz .LBB17_20
.LBB17_15:                              ;   Parent Loop BB17_3 Depth=1
                                        ; =>  This Inner Loop Header: Depth=2
	s_mov_b32 s31, exec_lo
	v_cmpx_gt_i32_e64 s6, v2
	s_cbranch_execz .LBB17_14
; %bb.16:                               ;   in Loop: Header=BB17_15 Depth=2
	global_load_b64 v[24:25], v[14:15], off
	global_load_b64 v[26:27], v[16:17], off
	s_wait_loadcnt 0x0
	v_fmac_f64_e32 v[12:13], v[24:25], v[26:27]
	s_branch .LBB17_14
.LBB17_17:                              ;   in Loop: Header=BB17_3 Depth=1
	ds_load_b64 v[12:13], v18
	s_or_b32 exec_lo, exec_lo, s4
	s_and_saveexec_b32 s4, s0
	s_cbranch_execz .LBB17_11
.LBB17_18:                              ;   in Loop: Header=BB17_3 Depth=1
	s_wait_dscnt 0x0
	ds_bpermute_b32 v14, v1, v12
	ds_bpermute_b32 v15, v1, v13
	s_wait_dscnt 0x0
	v_add_f64_e32 v[12:13], v[12:13], v[14:15]
	ds_bpermute_b32 v14, v20, v12
	ds_bpermute_b32 v15, v20, v13
	s_wait_dscnt 0x0
	v_add_f64_e32 v[12:13], v[12:13], v[14:15]
	;; [unrolled: 4-line block ×4, first 2 shown]
	s_or_b32 exec_lo, exec_lo, s4
	s_and_saveexec_b32 s4, vcc_lo
	s_cbranch_execz .LBB17_2
.LBB17_19:                              ;   in Loop: Header=BB17_3 Depth=1
	s_mul_u64 s[30:31], s[22:23], s[24:25]
	s_delay_alu instid0(SALU_CYCLE_1) | instskip(NEXT) | instid1(SALU_CYCLE_1)
	s_lshl_b64 s[30:31], s[30:31], 3
	s_add_nc_u64 s[30:31], s[12:13], s[30:31]
	s_wait_dscnt 0x0
	global_store_b64 v3, v[12:13], s[30:31]
	s_branch .LBB17_2
.LBB17_20:                              ;   in Loop: Header=BB17_3 Depth=1
	s_or_b32 exec_lo, exec_lo, s30
	s_delay_alu instid0(SALU_CYCLE_1)
	s_or_b32 exec_lo, exec_lo, s5
	s_and_saveexec_b32 s4, s0
	s_cbranch_execnz .LBB17_6
	s_branch .LBB17_7
.LBB17_21:
	s_endpgm
	.section	.rodata,"a",@progbits
	.p2align	6, 0x0
	.amdhsa_kernel _ZL20rocblas_trmvt_kernelILi512ELb0ELb1ELb0EPKdPdS2_EviT3_lllT4_lllT5_li
		.amdhsa_group_segment_fixed_size 256
		.amdhsa_private_segment_fixed_size 0
		.amdhsa_kernarg_size 92
		.amdhsa_user_sgpr_count 2
		.amdhsa_user_sgpr_dispatch_ptr 0
		.amdhsa_user_sgpr_queue_ptr 0
		.amdhsa_user_sgpr_kernarg_segment_ptr 1
		.amdhsa_user_sgpr_dispatch_id 0
		.amdhsa_user_sgpr_kernarg_preload_length 0
		.amdhsa_user_sgpr_kernarg_preload_offset 0
		.amdhsa_user_sgpr_private_segment_size 0
		.amdhsa_wavefront_size32 1
		.amdhsa_uses_dynamic_stack 0
		.amdhsa_enable_private_segment 0
		.amdhsa_system_sgpr_workgroup_id_x 1
		.amdhsa_system_sgpr_workgroup_id_y 0
		.amdhsa_system_sgpr_workgroup_id_z 1
		.amdhsa_system_sgpr_workgroup_info 0
		.amdhsa_system_vgpr_workitem_id 0
		.amdhsa_next_free_vgpr 28
		.amdhsa_next_free_sgpr 32
		.amdhsa_named_barrier_count 0
		.amdhsa_reserve_vcc 1
		.amdhsa_float_round_mode_32 0
		.amdhsa_float_round_mode_16_64 0
		.amdhsa_float_denorm_mode_32 3
		.amdhsa_float_denorm_mode_16_64 3
		.amdhsa_fp16_overflow 0
		.amdhsa_memory_ordered 1
		.amdhsa_forward_progress 1
		.amdhsa_inst_pref_size 9
		.amdhsa_round_robin_scheduling 0
		.amdhsa_exception_fp_ieee_invalid_op 0
		.amdhsa_exception_fp_denorm_src 0
		.amdhsa_exception_fp_ieee_div_zero 0
		.amdhsa_exception_fp_ieee_overflow 0
		.amdhsa_exception_fp_ieee_underflow 0
		.amdhsa_exception_fp_ieee_inexact 0
		.amdhsa_exception_int_div_zero 0
	.end_amdhsa_kernel
	.section	.text._ZL20rocblas_trmvt_kernelILi512ELb0ELb1ELb0EPKdPdS2_EviT3_lllT4_lllT5_li,"axG",@progbits,_ZL20rocblas_trmvt_kernelILi512ELb0ELb1ELb0EPKdPdS2_EviT3_lllT4_lllT5_li,comdat
.Lfunc_end17:
	.size	_ZL20rocblas_trmvt_kernelILi512ELb0ELb1ELb0EPKdPdS2_EviT3_lllT4_lllT5_li, .Lfunc_end17-_ZL20rocblas_trmvt_kernelILi512ELb0ELb1ELb0EPKdPdS2_EviT3_lllT4_lllT5_li
                                        ; -- End function
	.set _ZL20rocblas_trmvt_kernelILi512ELb0ELb1ELb0EPKdPdS2_EviT3_lllT4_lllT5_li.num_vgpr, 28
	.set _ZL20rocblas_trmvt_kernelILi512ELb0ELb1ELb0EPKdPdS2_EviT3_lllT4_lllT5_li.num_agpr, 0
	.set _ZL20rocblas_trmvt_kernelILi512ELb0ELb1ELb0EPKdPdS2_EviT3_lllT4_lllT5_li.numbered_sgpr, 32
	.set _ZL20rocblas_trmvt_kernelILi512ELb0ELb1ELb0EPKdPdS2_EviT3_lllT4_lllT5_li.num_named_barrier, 0
	.set _ZL20rocblas_trmvt_kernelILi512ELb0ELb1ELb0EPKdPdS2_EviT3_lllT4_lllT5_li.private_seg_size, 0
	.set _ZL20rocblas_trmvt_kernelILi512ELb0ELb1ELb0EPKdPdS2_EviT3_lllT4_lllT5_li.uses_vcc, 1
	.set _ZL20rocblas_trmvt_kernelILi512ELb0ELb1ELb0EPKdPdS2_EviT3_lllT4_lllT5_li.uses_flat_scratch, 0
	.set _ZL20rocblas_trmvt_kernelILi512ELb0ELb1ELb0EPKdPdS2_EviT3_lllT4_lllT5_li.has_dyn_sized_stack, 0
	.set _ZL20rocblas_trmvt_kernelILi512ELb0ELb1ELb0EPKdPdS2_EviT3_lllT4_lllT5_li.has_recursion, 0
	.set _ZL20rocblas_trmvt_kernelILi512ELb0ELb1ELb0EPKdPdS2_EviT3_lllT4_lllT5_li.has_indirect_call, 0
	.section	.AMDGPU.csdata,"",@progbits
; Kernel info:
; codeLenInByte = 1152
; TotalNumSgprs: 34
; NumVgprs: 28
; ScratchSize: 0
; MemoryBound: 1
; FloatMode: 240
; IeeeMode: 1
; LDSByteSize: 256 bytes/workgroup (compile time only)
; SGPRBlocks: 0
; VGPRBlocks: 1
; NumSGPRsForWavesPerEU: 34
; NumVGPRsForWavesPerEU: 28
; NamedBarCnt: 0
; Occupancy: 16
; WaveLimiterHint : 0
; COMPUTE_PGM_RSRC2:SCRATCH_EN: 0
; COMPUTE_PGM_RSRC2:USER_SGPR: 2
; COMPUTE_PGM_RSRC2:TRAP_HANDLER: 0
; COMPUTE_PGM_RSRC2:TGID_X_EN: 1
; COMPUTE_PGM_RSRC2:TGID_Y_EN: 0
; COMPUTE_PGM_RSRC2:TGID_Z_EN: 1
; COMPUTE_PGM_RSRC2:TIDIG_COMP_CNT: 0
	.section	.text._ZL20rocblas_trmvn_kernelILi64ELi16ELb1ELb1EPKdPdS2_EviT3_lllT4_lllT5_li,"axG",@progbits,_ZL20rocblas_trmvn_kernelILi64ELi16ELb1ELb1EPKdPdS2_EviT3_lllT4_lllT5_li,comdat
	.globl	_ZL20rocblas_trmvn_kernelILi64ELi16ELb1ELb1EPKdPdS2_EviT3_lllT4_lllT5_li ; -- Begin function _ZL20rocblas_trmvn_kernelILi64ELi16ELb1ELb1EPKdPdS2_EviT3_lllT4_lllT5_li
	.p2align	8
	.type	_ZL20rocblas_trmvn_kernelILi64ELi16ELb1ELb1EPKdPdS2_EviT3_lllT4_lllT5_li,@function
_ZL20rocblas_trmvn_kernelILi64ELi16ELb1ELb1EPKdPdS2_EviT3_lllT4_lllT5_li: ; @_ZL20rocblas_trmvn_kernelILi64ELi16ELb1ELb1EPKdPdS2_EviT3_lllT4_lllT5_li
; %bb.0:
	s_load_b32 s3, s[0:1], 0x58
	s_bfe_u32 s2, ttmp6, 0x40014
	s_lshr_b32 s4, ttmp7, 16
	s_add_co_i32 s2, s2, 1
	s_bfe_u32 s6, ttmp6, 0x40008
	s_mul_i32 s5, s4, s2
	s_getreg_b32 s2, hwreg(HW_REG_IB_STS2, 6, 4)
	s_add_co_i32 s6, s6, s5
	s_cmp_eq_u32 s2, 0
	s_mov_b32 s25, 0
	s_cselect_b32 s24, s4, s6
	s_wait_kmcnt 0x0
	s_cmp_ge_u32 s24, s3
	s_cbranch_scc1 .LBB18_14
; %bb.1:
	s_clause 0x1
	s_load_b512 s[4:19], s[0:1], 0x8
	s_load_b32 s20, s[0:1], 0x6c
	s_bfe_u32 s21, ttmp6, 0x4000c
	v_and_b32_e32 v12, 0x3ff, v0
	s_add_co_i32 s21, s21, 1
	v_bfe_u32 v2, v0, 10, 10
	s_delay_alu instid0(VALU_DEP_1)
	v_dual_lshlrev_b32 v14, 3, v12 :: v_dual_lshlrev_b32 v15, 9, v2
	s_wait_kmcnt 0x0
	s_lshl_b64 s[26:27], s[14:15], 3
	s_and_b32 s15, s20, 0xffff
	s_and_b32 s14, ttmp6, 15
	s_mul_i32 s20, ttmp9, s21
	s_delay_alu instid0(SALU_CYCLE_1)
	s_add_co_i32 s14, s14, s20
	s_cmp_eq_u32 s2, 0
	s_load_b128 s[20:23], s[0:1], 0x48
	s_cselect_b32 s2, ttmp9, s14
	s_load_b32 s14, s[0:1], 0x0
	v_lshl_add_u32 v0, s2, 6, v12
	v_mov_b32_e32 v3, 0
	s_lshl_b64 s[28:29], s[6:7], 3
	s_wait_xcnt 0x0
	v_cmp_eq_u32_e64 s0, 0, v2
	s_add_nc_u64 s[6:7], s[12:13], s[26:27]
	v_ashrrev_i32_e32 v1, 31, v0
	v_mul_u64_e32 v[6:7], s[8:9], v[2:3]
	v_mul_u64_e32 v[8:9], s[16:17], v[2:3]
	v_mad_u32_u24 v3, v2, s15, v12
	s_lshl_b64 s[12:13], s[16:17], 7
	v_mul_u64_e32 v[4:5], s[16:17], v[0:1]
	v_lshlrev_b64_e32 v[10:11], 3, v[0:1]
	v_mul_u32_u24_e32 v1, s15, v2
	v_cmp_gt_u32_e64 s1, 64, v3
	v_add_nc_u32_e32 v3, v14, v15
	s_lshl_b64 s[10:11], s[10:11], 3
	s_lshl_b64 s[8:9], s[8:9], 7
	v_lshl_add_u32 v1, v1, 3, v14
	s_wait_kmcnt 0x0
	v_cmp_gt_i32_e32 vcc_lo, s14, v0
	s_and_b32 s15, s0, vcc_lo
	v_cmp_gt_i32_e64 s0, s14, v2
	v_lshl_add_u64 v[6:7], v[6:7], 3, s[28:29]
	v_lshl_add_u64 v[8:9], v[8:9], 3, s[6:7]
	s_delay_alu instid0(VALU_DEP_2) | instskip(SKIP_1) | instid1(VALU_DEP_2)
	v_add_nc_u64_e32 v[12:13], v[6:7], v[10:11]
	v_add_nc_u64_e32 v[6:7], s[20:21], v[10:11]
	;; [unrolled: 1-line block ×3, first 2 shown]
	s_lshl_b64 s[4:5], s[18:19], 3
	s_branch .LBB18_3
.LBB18_2:                               ;   in Loop: Header=BB18_3 Depth=1
	s_wait_xcnt 0x0
	s_or_b32 exec_lo, exec_lo, s2
	s_add_co_i32 s24, s24, 0x10000
	s_delay_alu instid0(SALU_CYCLE_1)
	s_cmp_lt_u32 s24, s3
	s_cbranch_scc0 .LBB18_14
.LBB18_3:                               ; =>This Loop Header: Depth=1
                                        ;     Child Loop BB18_8 Depth 2
	v_mov_b64_e32 v[12:13], 0
	s_and_saveexec_b32 s2, s15
	s_cbranch_execz .LBB18_5
; %bb.4:                                ;   in Loop: Header=BB18_3 Depth=1
	s_mul_u64 s[16:17], s[18:19], s[24:25]
	s_delay_alu instid0(SALU_CYCLE_1) | instskip(NEXT) | instid1(SALU_CYCLE_1)
	s_lshl_b64 s[16:17], s[16:17], 3
	s_add_nc_u64 s[16:17], s[6:7], s[16:17]
	s_delay_alu instid0(SALU_CYCLE_1)
	v_lshl_add_u64 v[12:13], v[4:5], 3, s[16:17]
	global_load_b64 v[12:13], v[12:13], off
.LBB18_5:                               ;   in Loop: Header=BB18_3 Depth=1
	s_wait_xcnt 0x0
	s_or_b32 exec_lo, exec_lo, s2
	s_and_saveexec_b32 s16, s0
	s_cbranch_execz .LBB18_11
; %bb.6:                                ;   in Loop: Header=BB18_3 Depth=1
	v_mad_nc_u64_u32 v[14:15], s4, s24, v[8:9]
	v_mad_nc_u64_u32 v[16:17], s10, s24, v[10:11]
	v_mov_b32_e32 v18, v2
	s_mov_b32 s17, 0
	s_delay_alu instid0(VALU_DEP_3) | instskip(NEXT) | instid1(VALU_DEP_3)
	v_mad_u32 v15, s5, s24, v15
	v_mad_u32 v17, s11, s24, v17
	s_branch .LBB18_8
.LBB18_7:                               ;   in Loop: Header=BB18_8 Depth=2
	s_wait_xcnt 0x0
	s_or_b32 exec_lo, exec_lo, s2
	v_add_nc_u32_e32 v18, 16, v18
	v_add_nc_u64_e32 v[14:15], s[12:13], v[14:15]
	v_add_nc_u64_e32 v[16:17], s[8:9], v[16:17]
	s_delay_alu instid0(VALU_DEP_3) | instskip(SKIP_1) | instid1(SALU_CYCLE_1)
	v_cmp_le_i32_e64 s2, s14, v18
	s_or_b32 s17, s2, s17
	s_and_not1_b32 exec_lo, exec_lo, s17
	s_cbranch_execz .LBB18_10
.LBB18_8:                               ;   Parent Loop BB18_3 Depth=1
                                        ; =>  This Inner Loop Header: Depth=2
	v_cmp_lt_i32_e64 s2, v18, v0
	s_and_b32 s20, vcc_lo, s2
	s_delay_alu instid0(SALU_CYCLE_1)
	s_and_saveexec_b32 s2, s20
	s_cbranch_execz .LBB18_7
; %bb.9:                                ;   in Loop: Header=BB18_8 Depth=2
	global_load_b64 v[20:21], v[16:17], off
	global_load_b64 v[22:23], v[14:15], off
	s_wait_loadcnt 0x0
	v_fmac_f64_e32 v[12:13], v[20:21], v[22:23]
	s_branch .LBB18_7
.LBB18_10:                              ;   in Loop: Header=BB18_3 Depth=1
	s_or_b32 exec_lo, exec_lo, s17
.LBB18_11:                              ;   in Loop: Header=BB18_3 Depth=1
	s_delay_alu instid0(SALU_CYCLE_1)
	s_or_b32 exec_lo, exec_lo, s16
	s_wait_loadcnt 0x0
	ds_store_b64 v3, v[12:13]
	s_wait_dscnt 0x0
	s_barrier_signal -1
	s_barrier_wait -1
	s_and_saveexec_b32 s2, s1
	s_cbranch_execz .LBB18_2
; %bb.12:                               ;   in Loop: Header=BB18_3 Depth=1
	ds_load_2addr_stride64_b64 v[12:15], v1 offset1:1
	ds_load_2addr_stride64_b64 v[16:19], v1 offset0:2 offset1:3
	s_wait_dscnt 0x1
	v_add_f64_e32 v[12:13], v[12:13], v[14:15]
	s_wait_dscnt 0x0
	s_delay_alu instid0(VALU_DEP_1) | instskip(NEXT) | instid1(VALU_DEP_1)
	v_add_f64_e32 v[12:13], v[16:17], v[12:13]
	v_add_f64_e32 v[20:21], v[18:19], v[12:13]
	ds_load_2addr_stride64_b64 v[12:15], v1 offset0:4 offset1:5
	ds_load_2addr_stride64_b64 v[16:19], v1 offset0:6 offset1:7
	s_wait_dscnt 0x1
	v_add_f64_e32 v[12:13], v[12:13], v[20:21]
	s_delay_alu instid0(VALU_DEP_1) | instskip(SKIP_1) | instid1(VALU_DEP_1)
	v_add_f64_e32 v[12:13], v[14:15], v[12:13]
	s_wait_dscnt 0x0
	v_add_f64_e32 v[12:13], v[16:17], v[12:13]
	s_delay_alu instid0(VALU_DEP_1) | instskip(SKIP_4) | instid1(VALU_DEP_1)
	v_add_f64_e32 v[20:21], v[18:19], v[12:13]
	ds_load_2addr_stride64_b64 v[12:15], v1 offset0:8 offset1:9
	ds_load_2addr_stride64_b64 v[16:19], v1 offset0:10 offset1:11
	s_wait_dscnt 0x1
	v_add_f64_e32 v[12:13], v[12:13], v[20:21]
	v_add_f64_e32 v[12:13], v[14:15], v[12:13]
	s_wait_dscnt 0x0
	s_delay_alu instid0(VALU_DEP_1) | instskip(NEXT) | instid1(VALU_DEP_1)
	v_add_f64_e32 v[12:13], v[16:17], v[12:13]
	v_add_f64_e32 v[20:21], v[18:19], v[12:13]
	ds_load_2addr_stride64_b64 v[12:15], v1 offset0:12 offset1:13
	ds_load_2addr_stride64_b64 v[16:19], v1 offset0:14 offset1:15
	s_wait_dscnt 0x1
	v_add_f64_e32 v[12:13], v[12:13], v[20:21]
	s_delay_alu instid0(VALU_DEP_1) | instskip(SKIP_1) | instid1(VALU_DEP_1)
	v_add_f64_e32 v[12:13], v[14:15], v[12:13]
	s_wait_dscnt 0x0
	v_add_f64_e32 v[12:13], v[16:17], v[12:13]
	s_delay_alu instid0(VALU_DEP_1)
	v_add_f64_e32 v[12:13], v[18:19], v[12:13]
	ds_store_b64 v1, v[12:13]
	s_and_b32 exec_lo, exec_lo, vcc_lo
	s_cbranch_execz .LBB18_2
; %bb.13:                               ;   in Loop: Header=BB18_3 Depth=1
	s_mul_u64 s[16:17], s[22:23], s[24:25]
	s_delay_alu instid0(SALU_CYCLE_1)
	v_lshl_add_u64 v[14:15], s[16:17], 3, v[6:7]
	global_store_b64 v[14:15], v[12:13], off
	s_branch .LBB18_2
.LBB18_14:
	s_endpgm
	.section	.rodata,"a",@progbits
	.p2align	6, 0x0
	.amdhsa_kernel _ZL20rocblas_trmvn_kernelILi64ELi16ELb1ELb1EPKdPdS2_EviT3_lllT4_lllT5_li
		.amdhsa_group_segment_fixed_size 8192
		.amdhsa_private_segment_fixed_size 0
		.amdhsa_kernarg_size 352
		.amdhsa_user_sgpr_count 2
		.amdhsa_user_sgpr_dispatch_ptr 0
		.amdhsa_user_sgpr_queue_ptr 0
		.amdhsa_user_sgpr_kernarg_segment_ptr 1
		.amdhsa_user_sgpr_dispatch_id 0
		.amdhsa_user_sgpr_kernarg_preload_length 0
		.amdhsa_user_sgpr_kernarg_preload_offset 0
		.amdhsa_user_sgpr_private_segment_size 0
		.amdhsa_wavefront_size32 1
		.amdhsa_uses_dynamic_stack 0
		.amdhsa_enable_private_segment 0
		.amdhsa_system_sgpr_workgroup_id_x 1
		.amdhsa_system_sgpr_workgroup_id_y 0
		.amdhsa_system_sgpr_workgroup_id_z 1
		.amdhsa_system_sgpr_workgroup_info 0
		.amdhsa_system_vgpr_workitem_id 1
		.amdhsa_next_free_vgpr 24
		.amdhsa_next_free_sgpr 30
		.amdhsa_named_barrier_count 0
		.amdhsa_reserve_vcc 1
		.amdhsa_float_round_mode_32 0
		.amdhsa_float_round_mode_16_64 0
		.amdhsa_float_denorm_mode_32 3
		.amdhsa_float_denorm_mode_16_64 3
		.amdhsa_fp16_overflow 0
		.amdhsa_memory_ordered 1
		.amdhsa_forward_progress 1
		.amdhsa_inst_pref_size 7
		.amdhsa_round_robin_scheduling 0
		.amdhsa_exception_fp_ieee_invalid_op 0
		.amdhsa_exception_fp_denorm_src 0
		.amdhsa_exception_fp_ieee_div_zero 0
		.amdhsa_exception_fp_ieee_overflow 0
		.amdhsa_exception_fp_ieee_underflow 0
		.amdhsa_exception_fp_ieee_inexact 0
		.amdhsa_exception_int_div_zero 0
	.end_amdhsa_kernel
	.section	.text._ZL20rocblas_trmvn_kernelILi64ELi16ELb1ELb1EPKdPdS2_EviT3_lllT4_lllT5_li,"axG",@progbits,_ZL20rocblas_trmvn_kernelILi64ELi16ELb1ELb1EPKdPdS2_EviT3_lllT4_lllT5_li,comdat
.Lfunc_end18:
	.size	_ZL20rocblas_trmvn_kernelILi64ELi16ELb1ELb1EPKdPdS2_EviT3_lllT4_lllT5_li, .Lfunc_end18-_ZL20rocblas_trmvn_kernelILi64ELi16ELb1ELb1EPKdPdS2_EviT3_lllT4_lllT5_li
                                        ; -- End function
	.set _ZL20rocblas_trmvn_kernelILi64ELi16ELb1ELb1EPKdPdS2_EviT3_lllT4_lllT5_li.num_vgpr, 24
	.set _ZL20rocblas_trmvn_kernelILi64ELi16ELb1ELb1EPKdPdS2_EviT3_lllT4_lllT5_li.num_agpr, 0
	.set _ZL20rocblas_trmvn_kernelILi64ELi16ELb1ELb1EPKdPdS2_EviT3_lllT4_lllT5_li.numbered_sgpr, 30
	.set _ZL20rocblas_trmvn_kernelILi64ELi16ELb1ELb1EPKdPdS2_EviT3_lllT4_lllT5_li.num_named_barrier, 0
	.set _ZL20rocblas_trmvn_kernelILi64ELi16ELb1ELb1EPKdPdS2_EviT3_lllT4_lllT5_li.private_seg_size, 0
	.set _ZL20rocblas_trmvn_kernelILi64ELi16ELb1ELb1EPKdPdS2_EviT3_lllT4_lllT5_li.uses_vcc, 1
	.set _ZL20rocblas_trmvn_kernelILi64ELi16ELb1ELb1EPKdPdS2_EviT3_lllT4_lllT5_li.uses_flat_scratch, 0
	.set _ZL20rocblas_trmvn_kernelILi64ELi16ELb1ELb1EPKdPdS2_EviT3_lllT4_lllT5_li.has_dyn_sized_stack, 0
	.set _ZL20rocblas_trmvn_kernelILi64ELi16ELb1ELb1EPKdPdS2_EviT3_lllT4_lllT5_li.has_recursion, 0
	.set _ZL20rocblas_trmvn_kernelILi64ELi16ELb1ELb1EPKdPdS2_EviT3_lllT4_lllT5_li.has_indirect_call, 0
	.section	.AMDGPU.csdata,"",@progbits
; Kernel info:
; codeLenInByte = 868
; TotalNumSgprs: 32
; NumVgprs: 24
; ScratchSize: 0
; MemoryBound: 1
; FloatMode: 240
; IeeeMode: 1
; LDSByteSize: 8192 bytes/workgroup (compile time only)
; SGPRBlocks: 0
; VGPRBlocks: 1
; NumSGPRsForWavesPerEU: 32
; NumVGPRsForWavesPerEU: 24
; NamedBarCnt: 0
; Occupancy: 16
; WaveLimiterHint : 0
; COMPUTE_PGM_RSRC2:SCRATCH_EN: 0
; COMPUTE_PGM_RSRC2:USER_SGPR: 2
; COMPUTE_PGM_RSRC2:TRAP_HANDLER: 0
; COMPUTE_PGM_RSRC2:TGID_X_EN: 1
; COMPUTE_PGM_RSRC2:TGID_Y_EN: 0
; COMPUTE_PGM_RSRC2:TGID_Z_EN: 1
; COMPUTE_PGM_RSRC2:TIDIG_COMP_CNT: 1
	.section	.text._ZL20rocblas_trmvt_kernelILi512ELb1ELb0ELb1EPKdPdS2_EviT3_lllT4_lllT5_li,"axG",@progbits,_ZL20rocblas_trmvt_kernelILi512ELb1ELb0ELb1EPKdPdS2_EviT3_lllT4_lllT5_li,comdat
	.globl	_ZL20rocblas_trmvt_kernelILi512ELb1ELb0ELb1EPKdPdS2_EviT3_lllT4_lllT5_li ; -- Begin function _ZL20rocblas_trmvt_kernelILi512ELb1ELb0ELb1EPKdPdS2_EviT3_lllT4_lllT5_li
	.p2align	8
	.type	_ZL20rocblas_trmvt_kernelILi512ELb1ELb0ELb1EPKdPdS2_EviT3_lllT4_lllT5_li,@function
_ZL20rocblas_trmvt_kernelILi512ELb1ELb0ELb1EPKdPdS2_EviT3_lllT4_lllT5_li: ; @_ZL20rocblas_trmvt_kernelILi512ELb1ELb0ELb1EPKdPdS2_EviT3_lllT4_lllT5_li
; %bb.0:
	s_load_b32 s26, s[0:1], 0x58
	s_bfe_u32 s2, ttmp6, 0x40014
	s_lshr_b32 s3, ttmp7, 16
	s_add_co_i32 s2, s2, 1
	s_bfe_u32 s5, ttmp6, 0x40008
	s_mul_i32 s4, s3, s2
	s_getreg_b32 s2, hwreg(HW_REG_IB_STS2, 6, 4)
	s_add_co_i32 s5, s5, s4
	s_cmp_eq_u32 s2, 0
	s_mov_b32 s25, 0
	s_cselect_b32 s24, s3, s5
	s_wait_kmcnt 0x0
	s_cmp_ge_u32 s24, s26
	s_cbranch_scc1 .LBB19_21
; %bb.1:
	s_clause 0x2
	s_load_b512 s[4:19], s[0:1], 0x8
	s_load_b32 s27, s[0:1], 0x0
	s_load_b128 s[20:23], s[0:1], 0x48
	v_dual_mov_b32 v3, 0 :: v_dual_bitop2_b32 v2, 31, v0 bitop3:0x40
	s_wait_xcnt 0x0
	s_bfe_u32 s0, ttmp6, 0x4000c
	v_mbcnt_lo_u32_b32 v4, -1, 0
	s_add_co_i32 s1, s0, 1
	v_dual_mov_b32 v1, v3 :: v_dual_lshlrev_b32 v16, 3, v2
	s_and_b32 s3, ttmp6, 15
	s_mul_i32 s28, ttmp9, s1
	v_cmp_gt_u32_e64 s1, 24, v4
	s_add_co_i32 s3, s3, s28
	v_lshl_or_b32 v17, v4, 2, 64
	v_cmp_gt_u32_e64 s0, 32, v0
	v_cmp_eq_u32_e32 vcc_lo, 0, v0
	v_cndmask_b32_e64 v5, 0, 8, s1
	s_wait_kmcnt 0x0
	v_mul_u64_e32 v[8:9], s[16:17], v[0:1]
	s_lshl_b64 s[28:29], s[14:15], 3
	s_cmp_eq_u32 s2, 0
	v_cmp_gt_u32_e64 s2, 28, v4
	v_cmp_gt_i32_e64 s1, s27, v0
	s_cselect_b32 s14, ttmp9, s3
	s_lshl_b64 s[6:7], s[6:7], 3
	s_ashr_i32 s15, s14, 31
	v_cndmask_b32_e64 v7, 0, 4, s2
	v_cmp_gt_u32_e64 s2, 30, v4
	v_cndmask_b32_e64 v6, 0, v0, s1
	s_mul_u64 s[8:9], s[8:9], s[14:15]
	v_add_lshl_u32 v1, v5, v4, 2
	s_lshl_b64 s[8:9], s[8:9], 3
	v_cndmask_b32_e64 v10, 0, 2, s2
	v_cmp_ne_u32_e64 s2, 31, v4
	v_lshrrev_b32_e32 v5, 2, v0
	s_add_nc_u64 s[6:7], s[8:9], s[6:7]
	s_add_nc_u64 s[12:13], s[12:13], s[28:29]
	;; [unrolled: 1-line block ×3, first 2 shown]
	v_add_co_ci_u32_e64 v11, null, 0, v4, s2
	v_cmp_eq_u32_e64 s2, 0, v2
	v_lshlrev_b32_e32 v2, 3, v6
	v_add_lshl_u32 v18, v7, v4, 2
	s_delay_alu instid0(VALU_DEP_4)
	v_lshlrev_b32_e32 v20, 2, v11
	v_add_lshl_u32 v19, v10, v4, 2
	v_and_b32_e32 v21, 0x78, v5
	v_add_nc_u64_e32 v[4:5], s[4:5], v[2:3]
	v_mov_b64_e32 v[6:7], 0
	v_cmp_gt_u32_e64 s3, 16, v0
	s_mul_u64 s[28:29], s[16:17], s[14:15]
	v_lshl_add_u64 v[8:9], v[8:9], 3, s[12:13]
	s_lshl_b64 s[8:9], s[14:15], 3
	s_lshl_b64 s[16:17], s[16:17], 12
	s_add_nc_u64 s[6:7], s[20:21], s[8:9]
	s_lshl_b64 s[8:9], s[10:11], 3
	s_lshl_b64 s[10:11], s[18:19], 3
	;; [unrolled: 1-line block ×3, first 2 shown]
	s_branch .LBB19_3
.LBB19_2:                               ;   in Loop: Header=BB19_3 Depth=1
	s_wait_xcnt 0x0
	s_or_b32 exec_lo, exec_lo, s4
	s_add_co_i32 s24, s24, 0x10000
	s_delay_alu instid0(SALU_CYCLE_1)
	s_cmp_lt_u32 s24, s26
	s_cbranch_scc0 .LBB19_21
.LBB19_3:                               ; =>This Loop Header: Depth=1
                                        ;     Child Loop BB19_15 Depth 2
	s_wait_dscnt 0x0
	v_mov_b64_e32 v[10:11], 0
	s_and_saveexec_b32 s4, vcc_lo
	s_cbranch_execnz .LBB19_12
; %bb.4:                                ;   in Loop: Header=BB19_3 Depth=1
	s_or_b32 exec_lo, exec_lo, s4
	s_and_saveexec_b32 s5, s1
	s_cbranch_execnz .LBB19_13
.LBB19_5:                               ;   in Loop: Header=BB19_3 Depth=1
	s_or_b32 exec_lo, exec_lo, s5
	s_and_saveexec_b32 s4, s0
.LBB19_6:                               ;   in Loop: Header=BB19_3 Depth=1
	ds_store_b64 v16, v[6:7]
.LBB19_7:                               ;   in Loop: Header=BB19_3 Depth=1
	s_or_b32 exec_lo, exec_lo, s4
	ds_bpermute_b32 v12, v17, v10
	ds_bpermute_b32 v13, v17, v11
	s_wait_dscnt 0x0
	s_barrier_signal -1
	s_barrier_wait -1
	v_add_f64_e32 v[10:11], v[10:11], v[12:13]
	ds_bpermute_b32 v12, v1, v10
	ds_bpermute_b32 v13, v1, v11
	s_wait_dscnt 0x0
	v_add_f64_e32 v[10:11], v[10:11], v[12:13]
	ds_bpermute_b32 v12, v18, v10
	ds_bpermute_b32 v13, v18, v11
	s_wait_dscnt 0x0
	;; [unrolled: 4-line block ×3, first 2 shown]
	v_add_f64_e32 v[10:11], v[10:11], v[12:13]
	ds_bpermute_b32 v12, v20, v10
	ds_bpermute_b32 v13, v20, v11
	s_and_saveexec_b32 s4, s2
	s_cbranch_execz .LBB19_9
; %bb.8:                                ;   in Loop: Header=BB19_3 Depth=1
	s_wait_dscnt 0x0
	v_add_f64_e32 v[10:11], v[10:11], v[12:13]
	ds_store_b64 v21, v[10:11]
.LBB19_9:                               ;   in Loop: Header=BB19_3 Depth=1
	s_or_b32 exec_lo, exec_lo, s4
	v_mov_b64_e32 v[10:11], 0
	s_wait_dscnt 0x0
	s_barrier_signal -1
	s_barrier_wait -1
	s_and_saveexec_b32 s4, s3
	s_cbranch_execnz .LBB19_17
; %bb.10:                               ;   in Loop: Header=BB19_3 Depth=1
	s_or_b32 exec_lo, exec_lo, s4
	s_and_saveexec_b32 s4, s0
	s_cbranch_execnz .LBB19_18
.LBB19_11:                              ;   in Loop: Header=BB19_3 Depth=1
	s_or_b32 exec_lo, exec_lo, s4
	s_and_saveexec_b32 s4, vcc_lo
	s_cbranch_execz .LBB19_2
	s_branch .LBB19_19
.LBB19_12:                              ;   in Loop: Header=BB19_3 Depth=1
	s_mul_u64 s[28:29], s[18:19], s[24:25]
	s_delay_alu instid0(SALU_CYCLE_1) | instskip(NEXT) | instid1(SALU_CYCLE_1)
	s_lshl_b64 s[28:29], s[28:29], 3
	s_add_nc_u64 s[28:29], s[12:13], s[28:29]
	s_delay_alu instid0(SALU_CYCLE_1)
	s_add_nc_u64 s[28:29], s[28:29], s[20:21]
	global_load_b64 v[10:11], v3, s[28:29]
	s_wait_loadcnt 0x0
	v_add_f64_e32 v[10:11], 0, v[10:11]
	s_wait_xcnt 0x0
	s_or_b32 exec_lo, exec_lo, s4
	s_and_saveexec_b32 s5, s1
	s_cbranch_execz .LBB19_5
.LBB19_13:                              ;   in Loop: Header=BB19_3 Depth=1
	v_mad_nc_u64_u32 v[12:13], s8, s24, v[4:5]
	v_mad_nc_u64_u32 v[14:15], s10, s24, v[8:9]
	v_mov_b32_e32 v2, v0
	s_mov_b32 s15, 0
	s_delay_alu instid0(VALU_DEP_3) | instskip(NEXT) | instid1(VALU_DEP_3)
	v_mad_u32 v13, s9, s24, v13
	v_mad_u32 v15, s11, s24, v15
	s_branch .LBB19_15
.LBB19_14:                              ;   in Loop: Header=BB19_15 Depth=2
	s_wait_xcnt 0x0
	s_or_b32 exec_lo, exec_lo, s28
	v_add_nc_u32_e32 v2, 0x200, v2
	s_delay_alu instid0(VALU_DEP_4) | instskip(NEXT) | instid1(VALU_DEP_4)
	v_add_nc_u64_e32 v[12:13], 0x1000, v[12:13]
	v_add_nc_u64_e32 v[14:15], s[16:17], v[14:15]
	s_delay_alu instid0(VALU_DEP_3) | instskip(SKIP_1) | instid1(SALU_CYCLE_1)
	v_cmp_le_i32_e64 s4, s27, v2
	s_or_b32 s15, s4, s15
	s_and_not1_b32 exec_lo, exec_lo, s15
	s_cbranch_execz .LBB19_20
.LBB19_15:                              ;   Parent Loop BB19_3 Depth=1
                                        ; =>  This Inner Loop Header: Depth=2
	s_mov_b32 s28, exec_lo
	v_cmpx_lt_i32_e64 s14, v2
	s_cbranch_execz .LBB19_14
; %bb.16:                               ;   in Loop: Header=BB19_15 Depth=2
	global_load_b64 v[22:23], v[12:13], off
	global_load_b64 v[24:25], v[14:15], off
	s_wait_loadcnt 0x0
	v_fmac_f64_e32 v[10:11], v[22:23], v[24:25]
	s_branch .LBB19_14
.LBB19_17:                              ;   in Loop: Header=BB19_3 Depth=1
	ds_load_b64 v[10:11], v16
	s_or_b32 exec_lo, exec_lo, s4
	s_and_saveexec_b32 s4, s0
	s_cbranch_execz .LBB19_11
.LBB19_18:                              ;   in Loop: Header=BB19_3 Depth=1
	s_wait_dscnt 0x0
	ds_bpermute_b32 v12, v1, v10
	ds_bpermute_b32 v13, v1, v11
	s_wait_dscnt 0x0
	v_add_f64_e32 v[10:11], v[10:11], v[12:13]
	ds_bpermute_b32 v12, v18, v10
	ds_bpermute_b32 v13, v18, v11
	s_wait_dscnt 0x0
	v_add_f64_e32 v[10:11], v[10:11], v[12:13]
	;; [unrolled: 4-line block ×4, first 2 shown]
	s_or_b32 exec_lo, exec_lo, s4
	s_and_saveexec_b32 s4, vcc_lo
	s_cbranch_execz .LBB19_2
.LBB19_19:                              ;   in Loop: Header=BB19_3 Depth=1
	s_mul_u64 s[28:29], s[22:23], s[24:25]
	s_delay_alu instid0(SALU_CYCLE_1) | instskip(NEXT) | instid1(SALU_CYCLE_1)
	s_lshl_b64 s[28:29], s[28:29], 3
	s_add_nc_u64 s[28:29], s[6:7], s[28:29]
	s_wait_dscnt 0x0
	global_store_b64 v3, v[10:11], s[28:29]
	s_branch .LBB19_2
.LBB19_20:                              ;   in Loop: Header=BB19_3 Depth=1
	s_or_b32 exec_lo, exec_lo, s15
	s_delay_alu instid0(SALU_CYCLE_1)
	s_or_b32 exec_lo, exec_lo, s5
	s_and_saveexec_b32 s4, s0
	s_cbranch_execnz .LBB19_6
	s_branch .LBB19_7
.LBB19_21:
	s_endpgm
	.section	.rodata,"a",@progbits
	.p2align	6, 0x0
	.amdhsa_kernel _ZL20rocblas_trmvt_kernelILi512ELb1ELb0ELb1EPKdPdS2_EviT3_lllT4_lllT5_li
		.amdhsa_group_segment_fixed_size 256
		.amdhsa_private_segment_fixed_size 0
		.amdhsa_kernarg_size 92
		.amdhsa_user_sgpr_count 2
		.amdhsa_user_sgpr_dispatch_ptr 0
		.amdhsa_user_sgpr_queue_ptr 0
		.amdhsa_user_sgpr_kernarg_segment_ptr 1
		.amdhsa_user_sgpr_dispatch_id 0
		.amdhsa_user_sgpr_kernarg_preload_length 0
		.amdhsa_user_sgpr_kernarg_preload_offset 0
		.amdhsa_user_sgpr_private_segment_size 0
		.amdhsa_wavefront_size32 1
		.amdhsa_uses_dynamic_stack 0
		.amdhsa_enable_private_segment 0
		.amdhsa_system_sgpr_workgroup_id_x 1
		.amdhsa_system_sgpr_workgroup_id_y 0
		.amdhsa_system_sgpr_workgroup_id_z 1
		.amdhsa_system_sgpr_workgroup_info 0
		.amdhsa_system_vgpr_workitem_id 0
		.amdhsa_next_free_vgpr 26
		.amdhsa_next_free_sgpr 30
		.amdhsa_named_barrier_count 0
		.amdhsa_reserve_vcc 1
		.amdhsa_float_round_mode_32 0
		.amdhsa_float_round_mode_16_64 0
		.amdhsa_float_denorm_mode_32 3
		.amdhsa_float_denorm_mode_16_64 3
		.amdhsa_fp16_overflow 0
		.amdhsa_memory_ordered 1
		.amdhsa_forward_progress 1
		.amdhsa_inst_pref_size 9
		.amdhsa_round_robin_scheduling 0
		.amdhsa_exception_fp_ieee_invalid_op 0
		.amdhsa_exception_fp_denorm_src 0
		.amdhsa_exception_fp_ieee_div_zero 0
		.amdhsa_exception_fp_ieee_overflow 0
		.amdhsa_exception_fp_ieee_underflow 0
		.amdhsa_exception_fp_ieee_inexact 0
		.amdhsa_exception_int_div_zero 0
	.end_amdhsa_kernel
	.section	.text._ZL20rocblas_trmvt_kernelILi512ELb1ELb0ELb1EPKdPdS2_EviT3_lllT4_lllT5_li,"axG",@progbits,_ZL20rocblas_trmvt_kernelILi512ELb1ELb0ELb1EPKdPdS2_EviT3_lllT4_lllT5_li,comdat
.Lfunc_end19:
	.size	_ZL20rocblas_trmvt_kernelILi512ELb1ELb0ELb1EPKdPdS2_EviT3_lllT4_lllT5_li, .Lfunc_end19-_ZL20rocblas_trmvt_kernelILi512ELb1ELb0ELb1EPKdPdS2_EviT3_lllT4_lllT5_li
                                        ; -- End function
	.set _ZL20rocblas_trmvt_kernelILi512ELb1ELb0ELb1EPKdPdS2_EviT3_lllT4_lllT5_li.num_vgpr, 26
	.set _ZL20rocblas_trmvt_kernelILi512ELb1ELb0ELb1EPKdPdS2_EviT3_lllT4_lllT5_li.num_agpr, 0
	.set _ZL20rocblas_trmvt_kernelILi512ELb1ELb0ELb1EPKdPdS2_EviT3_lllT4_lllT5_li.numbered_sgpr, 30
	.set _ZL20rocblas_trmvt_kernelILi512ELb1ELb0ELb1EPKdPdS2_EviT3_lllT4_lllT5_li.num_named_barrier, 0
	.set _ZL20rocblas_trmvt_kernelILi512ELb1ELb0ELb1EPKdPdS2_EviT3_lllT4_lllT5_li.private_seg_size, 0
	.set _ZL20rocblas_trmvt_kernelILi512ELb1ELb0ELb1EPKdPdS2_EviT3_lllT4_lllT5_li.uses_vcc, 1
	.set _ZL20rocblas_trmvt_kernelILi512ELb1ELb0ELb1EPKdPdS2_EviT3_lllT4_lllT5_li.uses_flat_scratch, 0
	.set _ZL20rocblas_trmvt_kernelILi512ELb1ELb0ELb1EPKdPdS2_EviT3_lllT4_lllT5_li.has_dyn_sized_stack, 0
	.set _ZL20rocblas_trmvt_kernelILi512ELb1ELb0ELb1EPKdPdS2_EviT3_lllT4_lllT5_li.has_recursion, 0
	.set _ZL20rocblas_trmvt_kernelILi512ELb1ELb0ELb1EPKdPdS2_EviT3_lllT4_lllT5_li.has_indirect_call, 0
	.section	.AMDGPU.csdata,"",@progbits
; Kernel info:
; codeLenInByte = 1100
; TotalNumSgprs: 32
; NumVgprs: 26
; ScratchSize: 0
; MemoryBound: 1
; FloatMode: 240
; IeeeMode: 1
; LDSByteSize: 256 bytes/workgroup (compile time only)
; SGPRBlocks: 0
; VGPRBlocks: 1
; NumSGPRsForWavesPerEU: 32
; NumVGPRsForWavesPerEU: 26
; NamedBarCnt: 0
; Occupancy: 16
; WaveLimiterHint : 0
; COMPUTE_PGM_RSRC2:SCRATCH_EN: 0
; COMPUTE_PGM_RSRC2:USER_SGPR: 2
; COMPUTE_PGM_RSRC2:TRAP_HANDLER: 0
; COMPUTE_PGM_RSRC2:TGID_X_EN: 1
; COMPUTE_PGM_RSRC2:TGID_Y_EN: 0
; COMPUTE_PGM_RSRC2:TGID_Z_EN: 1
; COMPUTE_PGM_RSRC2:TIDIG_COMP_CNT: 0
	.section	.text._ZL20rocblas_trmvt_kernelILi512ELb1ELb1ELb1EPKdPdS2_EviT3_lllT4_lllT5_li,"axG",@progbits,_ZL20rocblas_trmvt_kernelILi512ELb1ELb1ELb1EPKdPdS2_EviT3_lllT4_lllT5_li,comdat
	.globl	_ZL20rocblas_trmvt_kernelILi512ELb1ELb1ELb1EPKdPdS2_EviT3_lllT4_lllT5_li ; -- Begin function _ZL20rocblas_trmvt_kernelILi512ELb1ELb1ELb1EPKdPdS2_EviT3_lllT4_lllT5_li
	.p2align	8
	.type	_ZL20rocblas_trmvt_kernelILi512ELb1ELb1ELb1EPKdPdS2_EviT3_lllT4_lllT5_li,@function
_ZL20rocblas_trmvt_kernelILi512ELb1ELb1ELb1EPKdPdS2_EviT3_lllT4_lllT5_li: ; @_ZL20rocblas_trmvt_kernelILi512ELb1ELb1ELb1EPKdPdS2_EviT3_lllT4_lllT5_li
; %bb.0:
	s_load_b32 s26, s[0:1], 0x58
	s_bfe_u32 s2, ttmp6, 0x40014
	s_lshr_b32 s3, ttmp7, 16
	s_add_co_i32 s2, s2, 1
	s_bfe_u32 s5, ttmp6, 0x40008
	s_mul_i32 s4, s3, s2
	s_getreg_b32 s2, hwreg(HW_REG_IB_STS2, 6, 4)
	s_add_co_i32 s5, s5, s4
	s_cmp_eq_u32 s2, 0
	s_mov_b32 s25, 0
	s_cselect_b32 s24, s3, s5
	s_wait_kmcnt 0x0
	s_cmp_ge_u32 s24, s26
	s_cbranch_scc1 .LBB20_21
; %bb.1:
	s_clause 0x2
	s_load_b512 s[4:19], s[0:1], 0x8
	s_load_b32 s27, s[0:1], 0x0
	s_load_b128 s[20:23], s[0:1], 0x48
	v_dual_mov_b32 v3, 0 :: v_dual_bitop2_b32 v2, 31, v0 bitop3:0x40
	s_wait_xcnt 0x0
	s_bfe_u32 s0, ttmp6, 0x4000c
	v_mbcnt_lo_u32_b32 v4, -1, 0
	s_add_co_i32 s1, s0, 1
	v_dual_mov_b32 v1, v3 :: v_dual_lshlrev_b32 v16, 3, v2
	s_and_b32 s3, ttmp6, 15
	s_mul_i32 s28, ttmp9, s1
	v_cmp_gt_u32_e64 s1, 24, v4
	s_add_co_i32 s3, s3, s28
	v_lshl_or_b32 v17, v4, 2, 64
	v_cmp_gt_u32_e64 s0, 32, v0
	v_cmp_eq_u32_e32 vcc_lo, 0, v0
	v_cndmask_b32_e64 v5, 0, 8, s1
	s_wait_kmcnt 0x0
	v_mul_u64_e32 v[8:9], s[16:17], v[0:1]
	s_lshl_b64 s[28:29], s[14:15], 3
	s_cmp_eq_u32 s2, 0
	v_cmp_gt_u32_e64 s2, 28, v4
	v_cmp_gt_i32_e64 s1, s27, v0
	s_cselect_b32 s14, ttmp9, s3
	s_lshl_b64 s[6:7], s[6:7], 3
	s_ashr_i32 s15, s14, 31
	v_cndmask_b32_e64 v7, 0, 4, s2
	v_cmp_gt_u32_e64 s2, 30, v4
	v_cndmask_b32_e64 v6, 0, v0, s1
	s_mul_u64 s[8:9], s[8:9], s[14:15]
	v_add_lshl_u32 v1, v5, v4, 2
	s_lshl_b64 s[8:9], s[8:9], 3
	v_cndmask_b32_e64 v10, 0, 2, s2
	v_cmp_ne_u32_e64 s2, 31, v4
	v_lshrrev_b32_e32 v5, 2, v0
	s_add_nc_u64 s[6:7], s[8:9], s[6:7]
	s_add_nc_u64 s[12:13], s[12:13], s[28:29]
	;; [unrolled: 1-line block ×3, first 2 shown]
	v_add_co_ci_u32_e64 v11, null, 0, v4, s2
	v_cmp_eq_u32_e64 s2, 0, v2
	v_lshlrev_b32_e32 v2, 3, v6
	v_add_lshl_u32 v18, v7, v4, 2
	s_delay_alu instid0(VALU_DEP_4)
	v_lshlrev_b32_e32 v20, 2, v11
	v_add_lshl_u32 v19, v10, v4, 2
	v_and_b32_e32 v21, 0x78, v5
	v_add_nc_u64_e32 v[4:5], s[4:5], v[2:3]
	v_mov_b64_e32 v[6:7], 0
	v_cmp_gt_u32_e64 s3, 16, v0
	s_mul_u64 s[28:29], s[16:17], s[14:15]
	v_lshl_add_u64 v[8:9], v[8:9], 3, s[12:13]
	s_lshl_b64 s[8:9], s[14:15], 3
	s_lshl_b64 s[16:17], s[16:17], 12
	s_add_nc_u64 s[6:7], s[20:21], s[8:9]
	s_lshl_b64 s[8:9], s[10:11], 3
	s_lshl_b64 s[10:11], s[18:19], 3
	;; [unrolled: 1-line block ×3, first 2 shown]
	s_branch .LBB20_3
.LBB20_2:                               ;   in Loop: Header=BB20_3 Depth=1
	s_wait_xcnt 0x0
	s_or_b32 exec_lo, exec_lo, s4
	s_add_co_i32 s24, s24, 0x10000
	s_delay_alu instid0(SALU_CYCLE_1)
	s_cmp_lt_u32 s24, s26
	s_cbranch_scc0 .LBB20_21
.LBB20_3:                               ; =>This Loop Header: Depth=1
                                        ;     Child Loop BB20_15 Depth 2
	s_wait_dscnt 0x0
	v_mov_b64_e32 v[10:11], 0
	s_and_saveexec_b32 s4, vcc_lo
	s_cbranch_execnz .LBB20_12
; %bb.4:                                ;   in Loop: Header=BB20_3 Depth=1
	s_or_b32 exec_lo, exec_lo, s4
	s_and_saveexec_b32 s5, s1
	s_cbranch_execnz .LBB20_13
.LBB20_5:                               ;   in Loop: Header=BB20_3 Depth=1
	s_or_b32 exec_lo, exec_lo, s5
	s_and_saveexec_b32 s4, s0
.LBB20_6:                               ;   in Loop: Header=BB20_3 Depth=1
	ds_store_b64 v16, v[6:7]
.LBB20_7:                               ;   in Loop: Header=BB20_3 Depth=1
	s_or_b32 exec_lo, exec_lo, s4
	ds_bpermute_b32 v12, v17, v10
	ds_bpermute_b32 v13, v17, v11
	s_wait_dscnt 0x0
	s_barrier_signal -1
	s_barrier_wait -1
	v_add_f64_e32 v[10:11], v[10:11], v[12:13]
	ds_bpermute_b32 v12, v1, v10
	ds_bpermute_b32 v13, v1, v11
	s_wait_dscnt 0x0
	v_add_f64_e32 v[10:11], v[10:11], v[12:13]
	ds_bpermute_b32 v12, v18, v10
	ds_bpermute_b32 v13, v18, v11
	s_wait_dscnt 0x0
	;; [unrolled: 4-line block ×3, first 2 shown]
	v_add_f64_e32 v[10:11], v[10:11], v[12:13]
	ds_bpermute_b32 v12, v20, v10
	ds_bpermute_b32 v13, v20, v11
	s_and_saveexec_b32 s4, s2
	s_cbranch_execz .LBB20_9
; %bb.8:                                ;   in Loop: Header=BB20_3 Depth=1
	s_wait_dscnt 0x0
	v_add_f64_e32 v[10:11], v[10:11], v[12:13]
	ds_store_b64 v21, v[10:11]
.LBB20_9:                               ;   in Loop: Header=BB20_3 Depth=1
	s_or_b32 exec_lo, exec_lo, s4
	v_mov_b64_e32 v[10:11], 0
	s_wait_dscnt 0x0
	s_barrier_signal -1
	s_barrier_wait -1
	s_and_saveexec_b32 s4, s3
	s_cbranch_execnz .LBB20_17
; %bb.10:                               ;   in Loop: Header=BB20_3 Depth=1
	s_or_b32 exec_lo, exec_lo, s4
	s_and_saveexec_b32 s4, s0
	s_cbranch_execnz .LBB20_18
.LBB20_11:                              ;   in Loop: Header=BB20_3 Depth=1
	s_or_b32 exec_lo, exec_lo, s4
	s_and_saveexec_b32 s4, vcc_lo
	s_cbranch_execz .LBB20_2
	s_branch .LBB20_19
.LBB20_12:                              ;   in Loop: Header=BB20_3 Depth=1
	s_mul_u64 s[28:29], s[18:19], s[24:25]
	s_delay_alu instid0(SALU_CYCLE_1) | instskip(NEXT) | instid1(SALU_CYCLE_1)
	s_lshl_b64 s[28:29], s[28:29], 3
	s_add_nc_u64 s[28:29], s[12:13], s[28:29]
	s_delay_alu instid0(SALU_CYCLE_1)
	s_add_nc_u64 s[28:29], s[28:29], s[20:21]
	global_load_b64 v[10:11], v3, s[28:29]
	s_wait_loadcnt 0x0
	v_add_f64_e32 v[10:11], 0, v[10:11]
	s_wait_xcnt 0x0
	s_or_b32 exec_lo, exec_lo, s4
	s_and_saveexec_b32 s5, s1
	s_cbranch_execz .LBB20_5
.LBB20_13:                              ;   in Loop: Header=BB20_3 Depth=1
	v_mad_nc_u64_u32 v[12:13], s8, s24, v[4:5]
	v_mad_nc_u64_u32 v[14:15], s10, s24, v[8:9]
	v_mov_b32_e32 v2, v0
	s_mov_b32 s15, 0
	s_delay_alu instid0(VALU_DEP_3) | instskip(NEXT) | instid1(VALU_DEP_3)
	v_mad_u32 v13, s9, s24, v13
	v_mad_u32 v15, s11, s24, v15
	s_branch .LBB20_15
.LBB20_14:                              ;   in Loop: Header=BB20_15 Depth=2
	s_wait_xcnt 0x0
	s_or_b32 exec_lo, exec_lo, s28
	v_add_nc_u32_e32 v2, 0x200, v2
	s_delay_alu instid0(VALU_DEP_4) | instskip(NEXT) | instid1(VALU_DEP_4)
	v_add_nc_u64_e32 v[12:13], 0x1000, v[12:13]
	v_add_nc_u64_e32 v[14:15], s[16:17], v[14:15]
	s_delay_alu instid0(VALU_DEP_3) | instskip(SKIP_1) | instid1(SALU_CYCLE_1)
	v_cmp_le_i32_e64 s4, s27, v2
	s_or_b32 s15, s4, s15
	s_and_not1_b32 exec_lo, exec_lo, s15
	s_cbranch_execz .LBB20_20
.LBB20_15:                              ;   Parent Loop BB20_3 Depth=1
                                        ; =>  This Inner Loop Header: Depth=2
	s_mov_b32 s28, exec_lo
	v_cmpx_lt_i32_e64 s14, v2
	s_cbranch_execz .LBB20_14
; %bb.16:                               ;   in Loop: Header=BB20_15 Depth=2
	global_load_b64 v[22:23], v[12:13], off
	global_load_b64 v[24:25], v[14:15], off
	s_wait_loadcnt 0x0
	v_fmac_f64_e32 v[10:11], v[22:23], v[24:25]
	s_branch .LBB20_14
.LBB20_17:                              ;   in Loop: Header=BB20_3 Depth=1
	ds_load_b64 v[10:11], v16
	s_or_b32 exec_lo, exec_lo, s4
	s_and_saveexec_b32 s4, s0
	s_cbranch_execz .LBB20_11
.LBB20_18:                              ;   in Loop: Header=BB20_3 Depth=1
	s_wait_dscnt 0x0
	ds_bpermute_b32 v12, v1, v10
	ds_bpermute_b32 v13, v1, v11
	s_wait_dscnt 0x0
	v_add_f64_e32 v[10:11], v[10:11], v[12:13]
	ds_bpermute_b32 v12, v18, v10
	ds_bpermute_b32 v13, v18, v11
	s_wait_dscnt 0x0
	v_add_f64_e32 v[10:11], v[10:11], v[12:13]
	;; [unrolled: 4-line block ×4, first 2 shown]
	s_or_b32 exec_lo, exec_lo, s4
	s_and_saveexec_b32 s4, vcc_lo
	s_cbranch_execz .LBB20_2
.LBB20_19:                              ;   in Loop: Header=BB20_3 Depth=1
	s_mul_u64 s[28:29], s[22:23], s[24:25]
	s_delay_alu instid0(SALU_CYCLE_1) | instskip(NEXT) | instid1(SALU_CYCLE_1)
	s_lshl_b64 s[28:29], s[28:29], 3
	s_add_nc_u64 s[28:29], s[6:7], s[28:29]
	s_wait_dscnt 0x0
	global_store_b64 v3, v[10:11], s[28:29]
	s_branch .LBB20_2
.LBB20_20:                              ;   in Loop: Header=BB20_3 Depth=1
	s_or_b32 exec_lo, exec_lo, s15
	s_delay_alu instid0(SALU_CYCLE_1)
	s_or_b32 exec_lo, exec_lo, s5
	s_and_saveexec_b32 s4, s0
	s_cbranch_execnz .LBB20_6
	s_branch .LBB20_7
.LBB20_21:
	s_endpgm
	.section	.rodata,"a",@progbits
	.p2align	6, 0x0
	.amdhsa_kernel _ZL20rocblas_trmvt_kernelILi512ELb1ELb1ELb1EPKdPdS2_EviT3_lllT4_lllT5_li
		.amdhsa_group_segment_fixed_size 256
		.amdhsa_private_segment_fixed_size 0
		.amdhsa_kernarg_size 92
		.amdhsa_user_sgpr_count 2
		.amdhsa_user_sgpr_dispatch_ptr 0
		.amdhsa_user_sgpr_queue_ptr 0
		.amdhsa_user_sgpr_kernarg_segment_ptr 1
		.amdhsa_user_sgpr_dispatch_id 0
		.amdhsa_user_sgpr_kernarg_preload_length 0
		.amdhsa_user_sgpr_kernarg_preload_offset 0
		.amdhsa_user_sgpr_private_segment_size 0
		.amdhsa_wavefront_size32 1
		.amdhsa_uses_dynamic_stack 0
		.amdhsa_enable_private_segment 0
		.amdhsa_system_sgpr_workgroup_id_x 1
		.amdhsa_system_sgpr_workgroup_id_y 0
		.amdhsa_system_sgpr_workgroup_id_z 1
		.amdhsa_system_sgpr_workgroup_info 0
		.amdhsa_system_vgpr_workitem_id 0
		.amdhsa_next_free_vgpr 26
		.amdhsa_next_free_sgpr 30
		.amdhsa_named_barrier_count 0
		.amdhsa_reserve_vcc 1
		.amdhsa_float_round_mode_32 0
		.amdhsa_float_round_mode_16_64 0
		.amdhsa_float_denorm_mode_32 3
		.amdhsa_float_denorm_mode_16_64 3
		.amdhsa_fp16_overflow 0
		.amdhsa_memory_ordered 1
		.amdhsa_forward_progress 1
		.amdhsa_inst_pref_size 9
		.amdhsa_round_robin_scheduling 0
		.amdhsa_exception_fp_ieee_invalid_op 0
		.amdhsa_exception_fp_denorm_src 0
		.amdhsa_exception_fp_ieee_div_zero 0
		.amdhsa_exception_fp_ieee_overflow 0
		.amdhsa_exception_fp_ieee_underflow 0
		.amdhsa_exception_fp_ieee_inexact 0
		.amdhsa_exception_int_div_zero 0
	.end_amdhsa_kernel
	.section	.text._ZL20rocblas_trmvt_kernelILi512ELb1ELb1ELb1EPKdPdS2_EviT3_lllT4_lllT5_li,"axG",@progbits,_ZL20rocblas_trmvt_kernelILi512ELb1ELb1ELb1EPKdPdS2_EviT3_lllT4_lllT5_li,comdat
.Lfunc_end20:
	.size	_ZL20rocblas_trmvt_kernelILi512ELb1ELb1ELb1EPKdPdS2_EviT3_lllT4_lllT5_li, .Lfunc_end20-_ZL20rocblas_trmvt_kernelILi512ELb1ELb1ELb1EPKdPdS2_EviT3_lllT4_lllT5_li
                                        ; -- End function
	.set _ZL20rocblas_trmvt_kernelILi512ELb1ELb1ELb1EPKdPdS2_EviT3_lllT4_lllT5_li.num_vgpr, 26
	.set _ZL20rocblas_trmvt_kernelILi512ELb1ELb1ELb1EPKdPdS2_EviT3_lllT4_lllT5_li.num_agpr, 0
	.set _ZL20rocblas_trmvt_kernelILi512ELb1ELb1ELb1EPKdPdS2_EviT3_lllT4_lllT5_li.numbered_sgpr, 30
	.set _ZL20rocblas_trmvt_kernelILi512ELb1ELb1ELb1EPKdPdS2_EviT3_lllT4_lllT5_li.num_named_barrier, 0
	.set _ZL20rocblas_trmvt_kernelILi512ELb1ELb1ELb1EPKdPdS2_EviT3_lllT4_lllT5_li.private_seg_size, 0
	.set _ZL20rocblas_trmvt_kernelILi512ELb1ELb1ELb1EPKdPdS2_EviT3_lllT4_lllT5_li.uses_vcc, 1
	.set _ZL20rocblas_trmvt_kernelILi512ELb1ELb1ELb1EPKdPdS2_EviT3_lllT4_lllT5_li.uses_flat_scratch, 0
	.set _ZL20rocblas_trmvt_kernelILi512ELb1ELb1ELb1EPKdPdS2_EviT3_lllT4_lllT5_li.has_dyn_sized_stack, 0
	.set _ZL20rocblas_trmvt_kernelILi512ELb1ELb1ELb1EPKdPdS2_EviT3_lllT4_lllT5_li.has_recursion, 0
	.set _ZL20rocblas_trmvt_kernelILi512ELb1ELb1ELb1EPKdPdS2_EviT3_lllT4_lllT5_li.has_indirect_call, 0
	.section	.AMDGPU.csdata,"",@progbits
; Kernel info:
; codeLenInByte = 1100
; TotalNumSgprs: 32
; NumVgprs: 26
; ScratchSize: 0
; MemoryBound: 1
; FloatMode: 240
; IeeeMode: 1
; LDSByteSize: 256 bytes/workgroup (compile time only)
; SGPRBlocks: 0
; VGPRBlocks: 1
; NumSGPRsForWavesPerEU: 32
; NumVGPRsForWavesPerEU: 26
; NamedBarCnt: 0
; Occupancy: 16
; WaveLimiterHint : 0
; COMPUTE_PGM_RSRC2:SCRATCH_EN: 0
; COMPUTE_PGM_RSRC2:USER_SGPR: 2
; COMPUTE_PGM_RSRC2:TRAP_HANDLER: 0
; COMPUTE_PGM_RSRC2:TGID_X_EN: 1
; COMPUTE_PGM_RSRC2:TGID_Y_EN: 0
; COMPUTE_PGM_RSRC2:TGID_Z_EN: 1
; COMPUTE_PGM_RSRC2:TIDIG_COMP_CNT: 0
	.section	.text._ZL20rocblas_trmvn_kernelILi64ELi16ELb1ELb0EPKdPdS2_EviT3_lllT4_lllT5_li,"axG",@progbits,_ZL20rocblas_trmvn_kernelILi64ELi16ELb1ELb0EPKdPdS2_EviT3_lllT4_lllT5_li,comdat
	.globl	_ZL20rocblas_trmvn_kernelILi64ELi16ELb1ELb0EPKdPdS2_EviT3_lllT4_lllT5_li ; -- Begin function _ZL20rocblas_trmvn_kernelILi64ELi16ELb1ELb0EPKdPdS2_EviT3_lllT4_lllT5_li
	.p2align	8
	.type	_ZL20rocblas_trmvn_kernelILi64ELi16ELb1ELb0EPKdPdS2_EviT3_lllT4_lllT5_li,@function
_ZL20rocblas_trmvn_kernelILi64ELi16ELb1ELb0EPKdPdS2_EviT3_lllT4_lllT5_li: ; @_ZL20rocblas_trmvn_kernelILi64ELi16ELb1ELb0EPKdPdS2_EviT3_lllT4_lllT5_li
; %bb.0:
	s_load_b32 s3, s[0:1], 0x58
	s_bfe_u32 s2, ttmp6, 0x40014
	s_lshr_b32 s4, ttmp7, 16
	s_add_co_i32 s2, s2, 1
	s_bfe_u32 s6, ttmp6, 0x40008
	s_mul_i32 s5, s4, s2
	s_getreg_b32 s2, hwreg(HW_REG_IB_STS2, 6, 4)
	s_add_co_i32 s6, s6, s5
	s_cmp_eq_u32 s2, 0
	s_mov_b32 s25, 0
	s_cselect_b32 s24, s4, s6
	s_wait_kmcnt 0x0
	s_cmp_ge_u32 s24, s3
	s_cbranch_scc1 .LBB21_14
; %bb.1:
	s_clause 0x1
	s_load_b512 s[4:19], s[0:1], 0x8
	s_load_b32 s20, s[0:1], 0x6c
	s_bfe_u32 s21, ttmp6, 0x4000c
	s_and_b32 s22, ttmp6, 15
	s_add_co_i32 s21, s21, 1
	v_and_b32_e32 v14, 0x3ff, v0
	s_mul_i32 s21, ttmp9, s21
	v_bfe_u32 v2, v0, 10, 10
	s_add_co_i32 s22, s22, s21
	s_load_b32 s26, s[0:1], 0x0
	v_lshlrev_b32_e32 v16, 3, v14
	s_wait_kmcnt 0x0
	s_lshl_b64 s[28:29], s[6:7], 3
	s_lshl_b64 s[14:15], s[14:15], 3
	s_and_b32 s27, s20, 0xffff
	s_cmp_eq_u32 s2, 0
	v_mad_u32_u24 v17, v2, s27, v14
	s_cselect_b32 s2, ttmp9, s22
	s_load_b128 s[20:23], s[0:1], 0x48
	v_lshl_add_u32 v0, s2, 6, v14
	v_mov_b32_e32 v3, 0
	s_wait_xcnt 0x0
	v_cmp_eq_u32_e64 s0, 0, v2
	s_add_nc_u64 s[12:13], s[12:13], s[14:15]
	v_cmp_gt_u32_e64 s1, 64, v17
	v_ashrrev_i32_e32 v1, 31, v0
	v_mul_u64_e32 v[8:9], s[8:9], v[2:3]
	v_mul_u64_e32 v[10:11], s[16:17], v[2:3]
	v_cmp_gt_i32_e32 vcc_lo, s26, v0
	s_add_nc_u64 s[6:7], s[4:5], s[28:29]
	v_mad_nc_u64_u32 v[4:5], v0, s8, v[0:1]
	v_mul_u64_e32 v[6:7], s[16:17], v[0:1]
	v_lshlrev_b64_e32 v[12:13], 3, v[0:1]
	s_lshl_b64 s[14:15], s[16:17], 7
	s_lshl_b64 s[16:17], s[10:11], 3
	s_delay_alu instid0(VALU_DEP_3) | instskip(SKIP_3) | instid1(VALU_DEP_2)
	v_mad_u32 v3, v1, s8, v5
	v_mul_u32_u24_e32 v1, s27, v2
	s_and_b32 s27, s0, vcc_lo
	v_cmp_gt_i32_e64 s0, s26, v2
	v_lshl_add_u32 v1, v1, 3, v16
	s_delay_alu instid0(VALU_DEP_4) | instskip(SKIP_4) | instid1(VALU_DEP_3)
	v_mad_u32 v5, v0, s9, v3
	v_lshlrev_b32_e32 v3, 9, v2
	s_lshl_b64 s[8:9], s[8:9], 7
	v_lshl_add_u64 v[8:9], v[8:9], 3, s[28:29]
	v_lshl_add_u64 v[10:11], v[10:11], 3, s[12:13]
	v_add_nc_u32_e32 v3, v16, v3
	s_delay_alu instid0(VALU_DEP_3) | instskip(SKIP_2) | instid1(VALU_DEP_2)
	v_add_nc_u64_e32 v[14:15], v[8:9], v[12:13]
	s_wait_kmcnt 0x0
	v_add_nc_u64_e32 v[8:9], s[20:21], v[12:13]
	v_add_nc_u64_e32 v[12:13], s[4:5], v[14:15]
	s_lshl_b64 s[4:5], s[18:19], 3
	s_branch .LBB21_3
.LBB21_2:                               ;   in Loop: Header=BB21_3 Depth=1
	s_wait_xcnt 0x0
	s_or_b32 exec_lo, exec_lo, s2
	s_add_co_i32 s24, s24, 0x10000
	s_delay_alu instid0(SALU_CYCLE_1)
	s_cmp_lt_u32 s24, s3
	s_cbranch_scc0 .LBB21_14
.LBB21_3:                               ; =>This Loop Header: Depth=1
                                        ;     Child Loop BB21_8 Depth 2
	v_mov_b64_e32 v[14:15], 0
	s_and_saveexec_b32 s2, s27
	s_cbranch_execz .LBB21_5
; %bb.4:                                ;   in Loop: Header=BB21_3 Depth=1
	s_mul_u64 s[20:21], s[10:11], s[24:25]
	s_mul_u64 s[28:29], s[18:19], s[24:25]
	s_lshl_b64 s[20:21], s[20:21], 3
	s_lshl_b64 s[28:29], s[28:29], 3
	s_add_nc_u64 s[20:21], s[6:7], s[20:21]
	s_add_nc_u64 s[28:29], s[12:13], s[28:29]
	v_lshl_add_u64 v[14:15], v[4:5], 3, s[20:21]
	v_lshl_add_u64 v[16:17], v[6:7], 3, s[28:29]
	global_load_b64 v[18:19], v[14:15], off
	global_load_b64 v[20:21], v[16:17], off
	s_wait_loadcnt 0x0
	s_wait_xcnt 0x1
	v_mul_f64_e32 v[14:15], v[18:19], v[20:21]
.LBB21_5:                               ;   in Loop: Header=BB21_3 Depth=1
	s_wait_xcnt 0x0
	s_or_b32 exec_lo, exec_lo, s2
	s_and_saveexec_b32 s20, s0
	s_cbranch_execz .LBB21_11
; %bb.6:                                ;   in Loop: Header=BB21_3 Depth=1
	v_mad_nc_u64_u32 v[16:17], s4, s24, v[10:11]
	v_mad_nc_u64_u32 v[18:19], s16, s24, v[12:13]
	v_mov_b32_e32 v20, v2
	s_mov_b32 s21, 0
	s_delay_alu instid0(VALU_DEP_3) | instskip(NEXT) | instid1(VALU_DEP_3)
	v_mad_u32 v17, s5, s24, v17
	v_mad_u32 v19, s17, s24, v19
	s_branch .LBB21_8
.LBB21_7:                               ;   in Loop: Header=BB21_8 Depth=2
	s_wait_xcnt 0x0
	s_or_b32 exec_lo, exec_lo, s2
	v_add_nc_u32_e32 v20, 16, v20
	v_add_nc_u64_e32 v[16:17], s[14:15], v[16:17]
	v_add_nc_u64_e32 v[18:19], s[8:9], v[18:19]
	s_delay_alu instid0(VALU_DEP_3) | instskip(SKIP_1) | instid1(SALU_CYCLE_1)
	v_cmp_le_i32_e64 s2, s26, v20
	s_or_b32 s21, s2, s21
	s_and_not1_b32 exec_lo, exec_lo, s21
	s_cbranch_execz .LBB21_10
.LBB21_8:                               ;   Parent Loop BB21_3 Depth=1
                                        ; =>  This Inner Loop Header: Depth=2
	v_cmp_lt_i32_e64 s2, v20, v0
	s_and_b32 s28, vcc_lo, s2
	s_delay_alu instid0(SALU_CYCLE_1)
	s_and_saveexec_b32 s2, s28
	s_cbranch_execz .LBB21_7
; %bb.9:                                ;   in Loop: Header=BB21_8 Depth=2
	global_load_b64 v[22:23], v[18:19], off
	global_load_b64 v[24:25], v[16:17], off
	s_wait_loadcnt 0x0
	v_fmac_f64_e32 v[14:15], v[22:23], v[24:25]
	s_branch .LBB21_7
.LBB21_10:                              ;   in Loop: Header=BB21_3 Depth=1
	s_or_b32 exec_lo, exec_lo, s21
.LBB21_11:                              ;   in Loop: Header=BB21_3 Depth=1
	s_delay_alu instid0(SALU_CYCLE_1)
	s_or_b32 exec_lo, exec_lo, s20
	ds_store_b64 v3, v[14:15]
	s_wait_dscnt 0x0
	s_barrier_signal -1
	s_barrier_wait -1
	s_and_saveexec_b32 s2, s1
	s_cbranch_execz .LBB21_2
; %bb.12:                               ;   in Loop: Header=BB21_3 Depth=1
	ds_load_2addr_stride64_b64 v[14:17], v1 offset1:1
	ds_load_2addr_stride64_b64 v[18:21], v1 offset0:2 offset1:3
	s_wait_dscnt 0x1
	v_add_f64_e32 v[14:15], v[14:15], v[16:17]
	s_wait_dscnt 0x0
	s_delay_alu instid0(VALU_DEP_1) | instskip(NEXT) | instid1(VALU_DEP_1)
	v_add_f64_e32 v[14:15], v[18:19], v[14:15]
	v_add_f64_e32 v[22:23], v[20:21], v[14:15]
	ds_load_2addr_stride64_b64 v[14:17], v1 offset0:4 offset1:5
	ds_load_2addr_stride64_b64 v[18:21], v1 offset0:6 offset1:7
	s_wait_dscnt 0x1
	v_add_f64_e32 v[14:15], v[14:15], v[22:23]
	s_delay_alu instid0(VALU_DEP_1) | instskip(SKIP_1) | instid1(VALU_DEP_1)
	v_add_f64_e32 v[14:15], v[16:17], v[14:15]
	s_wait_dscnt 0x0
	v_add_f64_e32 v[14:15], v[18:19], v[14:15]
	s_delay_alu instid0(VALU_DEP_1) | instskip(SKIP_4) | instid1(VALU_DEP_1)
	v_add_f64_e32 v[22:23], v[20:21], v[14:15]
	ds_load_2addr_stride64_b64 v[14:17], v1 offset0:8 offset1:9
	ds_load_2addr_stride64_b64 v[18:21], v1 offset0:10 offset1:11
	s_wait_dscnt 0x1
	v_add_f64_e32 v[14:15], v[14:15], v[22:23]
	v_add_f64_e32 v[14:15], v[16:17], v[14:15]
	s_wait_dscnt 0x0
	s_delay_alu instid0(VALU_DEP_1) | instskip(NEXT) | instid1(VALU_DEP_1)
	v_add_f64_e32 v[14:15], v[18:19], v[14:15]
	v_add_f64_e32 v[22:23], v[20:21], v[14:15]
	ds_load_2addr_stride64_b64 v[14:17], v1 offset0:12 offset1:13
	ds_load_2addr_stride64_b64 v[18:21], v1 offset0:14 offset1:15
	s_wait_dscnt 0x1
	v_add_f64_e32 v[14:15], v[14:15], v[22:23]
	s_delay_alu instid0(VALU_DEP_1) | instskip(SKIP_1) | instid1(VALU_DEP_1)
	v_add_f64_e32 v[14:15], v[16:17], v[14:15]
	s_wait_dscnt 0x0
	v_add_f64_e32 v[14:15], v[18:19], v[14:15]
	s_delay_alu instid0(VALU_DEP_1)
	v_add_f64_e32 v[14:15], v[20:21], v[14:15]
	ds_store_b64 v1, v[14:15]
	s_and_b32 exec_lo, exec_lo, vcc_lo
	s_cbranch_execz .LBB21_2
; %bb.13:                               ;   in Loop: Header=BB21_3 Depth=1
	s_mul_u64 s[20:21], s[22:23], s[24:25]
	s_delay_alu instid0(SALU_CYCLE_1)
	v_lshl_add_u64 v[16:17], s[20:21], 3, v[8:9]
	global_store_b64 v[16:17], v[14:15], off
	s_branch .LBB21_2
.LBB21_14:
	s_endpgm
	.section	.rodata,"a",@progbits
	.p2align	6, 0x0
	.amdhsa_kernel _ZL20rocblas_trmvn_kernelILi64ELi16ELb1ELb0EPKdPdS2_EviT3_lllT4_lllT5_li
		.amdhsa_group_segment_fixed_size 8192
		.amdhsa_private_segment_fixed_size 0
		.amdhsa_kernarg_size 352
		.amdhsa_user_sgpr_count 2
		.amdhsa_user_sgpr_dispatch_ptr 0
		.amdhsa_user_sgpr_queue_ptr 0
		.amdhsa_user_sgpr_kernarg_segment_ptr 1
		.amdhsa_user_sgpr_dispatch_id 0
		.amdhsa_user_sgpr_kernarg_preload_length 0
		.amdhsa_user_sgpr_kernarg_preload_offset 0
		.amdhsa_user_sgpr_private_segment_size 0
		.amdhsa_wavefront_size32 1
		.amdhsa_uses_dynamic_stack 0
		.amdhsa_enable_private_segment 0
		.amdhsa_system_sgpr_workgroup_id_x 1
		.amdhsa_system_sgpr_workgroup_id_y 0
		.amdhsa_system_sgpr_workgroup_id_z 1
		.amdhsa_system_sgpr_workgroup_info 0
		.amdhsa_system_vgpr_workitem_id 1
		.amdhsa_next_free_vgpr 26
		.amdhsa_next_free_sgpr 30
		.amdhsa_named_barrier_count 0
		.amdhsa_reserve_vcc 1
		.amdhsa_float_round_mode_32 0
		.amdhsa_float_round_mode_16_64 0
		.amdhsa_float_denorm_mode_32 3
		.amdhsa_float_denorm_mode_16_64 3
		.amdhsa_fp16_overflow 0
		.amdhsa_memory_ordered 1
		.amdhsa_forward_progress 1
		.amdhsa_inst_pref_size 8
		.amdhsa_round_robin_scheduling 0
		.amdhsa_exception_fp_ieee_invalid_op 0
		.amdhsa_exception_fp_denorm_src 0
		.amdhsa_exception_fp_ieee_div_zero 0
		.amdhsa_exception_fp_ieee_overflow 0
		.amdhsa_exception_fp_ieee_underflow 0
		.amdhsa_exception_fp_ieee_inexact 0
		.amdhsa_exception_int_div_zero 0
	.end_amdhsa_kernel
	.section	.text._ZL20rocblas_trmvn_kernelILi64ELi16ELb1ELb0EPKdPdS2_EviT3_lllT4_lllT5_li,"axG",@progbits,_ZL20rocblas_trmvn_kernelILi64ELi16ELb1ELb0EPKdPdS2_EviT3_lllT4_lllT5_li,comdat
.Lfunc_end21:
	.size	_ZL20rocblas_trmvn_kernelILi64ELi16ELb1ELb0EPKdPdS2_EviT3_lllT4_lllT5_li, .Lfunc_end21-_ZL20rocblas_trmvn_kernelILi64ELi16ELb1ELb0EPKdPdS2_EviT3_lllT4_lllT5_li
                                        ; -- End function
	.set _ZL20rocblas_trmvn_kernelILi64ELi16ELb1ELb0EPKdPdS2_EviT3_lllT4_lllT5_li.num_vgpr, 26
	.set _ZL20rocblas_trmvn_kernelILi64ELi16ELb1ELb0EPKdPdS2_EviT3_lllT4_lllT5_li.num_agpr, 0
	.set _ZL20rocblas_trmvn_kernelILi64ELi16ELb1ELb0EPKdPdS2_EviT3_lllT4_lllT5_li.numbered_sgpr, 30
	.set _ZL20rocblas_trmvn_kernelILi64ELi16ELb1ELb0EPKdPdS2_EviT3_lllT4_lllT5_li.num_named_barrier, 0
	.set _ZL20rocblas_trmvn_kernelILi64ELi16ELb1ELb0EPKdPdS2_EviT3_lllT4_lllT5_li.private_seg_size, 0
	.set _ZL20rocblas_trmvn_kernelILi64ELi16ELb1ELb0EPKdPdS2_EviT3_lllT4_lllT5_li.uses_vcc, 1
	.set _ZL20rocblas_trmvn_kernelILi64ELi16ELb1ELb0EPKdPdS2_EviT3_lllT4_lllT5_li.uses_flat_scratch, 0
	.set _ZL20rocblas_trmvn_kernelILi64ELi16ELb1ELb0EPKdPdS2_EviT3_lllT4_lllT5_li.has_dyn_sized_stack, 0
	.set _ZL20rocblas_trmvn_kernelILi64ELi16ELb1ELb0EPKdPdS2_EviT3_lllT4_lllT5_li.has_recursion, 0
	.set _ZL20rocblas_trmvn_kernelILi64ELi16ELb1ELb0EPKdPdS2_EviT3_lllT4_lllT5_li.has_indirect_call, 0
	.section	.AMDGPU.csdata,"",@progbits
; Kernel info:
; codeLenInByte = 924
; TotalNumSgprs: 32
; NumVgprs: 26
; ScratchSize: 0
; MemoryBound: 1
; FloatMode: 240
; IeeeMode: 1
; LDSByteSize: 8192 bytes/workgroup (compile time only)
; SGPRBlocks: 0
; VGPRBlocks: 1
; NumSGPRsForWavesPerEU: 32
; NumVGPRsForWavesPerEU: 26
; NamedBarCnt: 0
; Occupancy: 16
; WaveLimiterHint : 0
; COMPUTE_PGM_RSRC2:SCRATCH_EN: 0
; COMPUTE_PGM_RSRC2:USER_SGPR: 2
; COMPUTE_PGM_RSRC2:TRAP_HANDLER: 0
; COMPUTE_PGM_RSRC2:TGID_X_EN: 1
; COMPUTE_PGM_RSRC2:TGID_Y_EN: 0
; COMPUTE_PGM_RSRC2:TGID_Z_EN: 1
; COMPUTE_PGM_RSRC2:TIDIG_COMP_CNT: 1
	.section	.text._ZL20rocblas_trmvt_kernelILi512ELb1ELb0ELb0EPKdPdS2_EviT3_lllT4_lllT5_li,"axG",@progbits,_ZL20rocblas_trmvt_kernelILi512ELb1ELb0ELb0EPKdPdS2_EviT3_lllT4_lllT5_li,comdat
	.globl	_ZL20rocblas_trmvt_kernelILi512ELb1ELb0ELb0EPKdPdS2_EviT3_lllT4_lllT5_li ; -- Begin function _ZL20rocblas_trmvt_kernelILi512ELb1ELb0ELb0EPKdPdS2_EviT3_lllT4_lllT5_li
	.p2align	8
	.type	_ZL20rocblas_trmvt_kernelILi512ELb1ELb0ELb0EPKdPdS2_EviT3_lllT4_lllT5_li,@function
_ZL20rocblas_trmvt_kernelILi512ELb1ELb0ELb0EPKdPdS2_EviT3_lllT4_lllT5_li: ; @_ZL20rocblas_trmvt_kernelILi512ELb1ELb0ELb0EPKdPdS2_EviT3_lllT4_lllT5_li
; %bb.0:
	s_load_b32 s28, s[0:1], 0x58
	s_bfe_u32 s2, ttmp6, 0x40014
	s_lshr_b32 s3, ttmp7, 16
	s_add_co_i32 s2, s2, 1
	s_bfe_u32 s5, ttmp6, 0x40008
	s_mul_i32 s4, s3, s2
	s_getreg_b32 s2, hwreg(HW_REG_IB_STS2, 6, 4)
	s_add_co_i32 s5, s5, s4
	s_cmp_eq_u32 s2, 0
	s_mov_b32 s25, 0
	s_cselect_b32 s24, s3, s5
	s_wait_kmcnt 0x0
	s_cmp_ge_u32 s24, s28
	s_cbranch_scc1 .LBB22_21
; %bb.1:
	s_clause 0x2
	s_load_b32 s29, s[0:1], 0x0
	s_load_b512 s[4:19], s[0:1], 0x8
	s_load_b128 s[20:23], s[0:1], 0x48
	v_mbcnt_lo_u32_b32 v7, -1, 0
	s_wait_xcnt 0x0
	s_bfe_u32 s0, ttmp6, 0x4000c
	v_dual_mov_b32 v3, 0 :: v_dual_bitop2_b32 v6, 31, v0 bitop3:0x40
	s_add_co_i32 s1, s0, 1
	s_and_b32 s3, ttmp6, 15
	s_mul_i32 s26, ttmp9, s1
	v_cmp_gt_u32_e64 s1, 24, v7
	v_dual_mov_b32 v1, v3 :: v_dual_lshlrev_b32 v18, 3, v6
	s_add_co_i32 s3, s3, s26
	v_lshl_or_b32 v19, v7, 2, 64
	v_cndmask_b32_e64 v8, 0, 8, s1
	v_cmp_gt_u32_e64 s0, 32, v0
	v_cmp_eq_u32_e32 vcc_lo, 0, v0
	s_wait_kmcnt 0x0
	v_cmp_gt_i32_e64 s1, s29, v0
	v_mul_u64_e32 v[10:11], s[16:17], v[0:1]
	s_lshl_b64 s[14:15], s[14:15], 3
	s_lshl_b64 s[26:27], s[6:7], 3
	s_cmp_eq_u32 s2, 0
	v_cndmask_b32_e64 v2, 0, v0, s1
	v_cmp_gt_u32_e64 s2, 28, v7
	v_add_lshl_u32 v1, v8, v7, 2
	v_lshrrev_b32_e32 v8, 2, v0
	s_cselect_b32 s6, ttmp9, s3
	v_lshlrev_b32_e32 v2, 3, v2
	v_cndmask_b32_e64 v9, 0, 4, s2
	s_add_nc_u64 s[2:3], s[4:5], s[26:27]
	s_ashr_i32 s7, s6, 31
	v_and_b32_e32 v23, 0x78, v8
	v_add_nc_u64_e32 v[4:5], s[2:3], v[2:3]
	v_cmp_gt_u32_e64 s2, 30, v7
	v_add_lshl_u32 v20, v9, v7, 2
	v_mov_b64_e32 v[8:9], 0
	s_mul_u64 s[30:31], s[16:17], s[6:7]
	s_lshl_b64 s[16:17], s[16:17], 12
	v_cndmask_b32_e64 v12, 0, 2, s2
	s_mul_u64 s[2:3], s[8:9], s[6:7]
	s_add_nc_u64 s[8:9], s[12:13], s[14:15]
	s_lshl_b64 s[12:13], s[2:3], 3
	v_cmp_ne_u32_e64 s2, 31, v7
	v_add_nc_u64_e32 v[4:5], s[12:13], v[4:5]
	s_add_nc_u64 s[12:13], s[12:13], s[26:27]
	v_add_lshl_u32 v21, v12, v7, 2
	s_add_nc_u64 s[4:5], s[4:5], s[12:13]
	v_add_co_ci_u32_e64 v13, null, 0, v7, s2
	v_cmp_eq_u32_e64 s2, 0, v6
	v_cmp_gt_u32_e64 s3, 16, v0
	v_lshl_add_u64 v[10:11], v[10:11], 3, s[8:9]
	s_delay_alu instid0(VALU_DEP_4)
	v_lshlrev_b32_e32 v22, 2, v13
	v_add_nc_u64_e32 v[6:7], s[4:5], v[2:3]
	s_lshl_b64 s[14:15], s[6:7], 3
	s_lshl_b64 s[26:27], s[30:31], 3
	s_add_nc_u64 s[12:13], s[20:21], s[14:15]
	s_lshl_b64 s[14:15], s[10:11], 3
	s_lshl_b64 s[20:21], s[18:19], 3
	s_branch .LBB22_3
.LBB22_2:                               ;   in Loop: Header=BB22_3 Depth=1
	s_wait_xcnt 0x0
	s_or_b32 exec_lo, exec_lo, s4
	s_add_co_i32 s24, s24, 0x10000
	s_delay_alu instid0(SALU_CYCLE_1)
	s_cmp_lt_u32 s24, s28
	s_cbranch_scc0 .LBB22_21
.LBB22_3:                               ; =>This Loop Header: Depth=1
                                        ;     Child Loop BB22_15 Depth 2
	s_wait_dscnt 0x0
	v_mov_b64_e32 v[12:13], 0
	s_and_saveexec_b32 s4, vcc_lo
	s_cbranch_execnz .LBB22_12
; %bb.4:                                ;   in Loop: Header=BB22_3 Depth=1
	s_or_b32 exec_lo, exec_lo, s4
	s_and_saveexec_b32 s5, s1
	s_cbranch_execnz .LBB22_13
.LBB22_5:                               ;   in Loop: Header=BB22_3 Depth=1
	s_or_b32 exec_lo, exec_lo, s5
	s_and_saveexec_b32 s4, s0
.LBB22_6:                               ;   in Loop: Header=BB22_3 Depth=1
	ds_store_b64 v18, v[8:9]
.LBB22_7:                               ;   in Loop: Header=BB22_3 Depth=1
	s_or_b32 exec_lo, exec_lo, s4
	ds_bpermute_b32 v14, v19, v12
	ds_bpermute_b32 v15, v19, v13
	s_wait_dscnt 0x0
	s_barrier_signal -1
	s_barrier_wait -1
	v_add_f64_e32 v[12:13], v[12:13], v[14:15]
	ds_bpermute_b32 v14, v1, v12
	ds_bpermute_b32 v15, v1, v13
	s_wait_dscnt 0x0
	v_add_f64_e32 v[12:13], v[12:13], v[14:15]
	ds_bpermute_b32 v14, v20, v12
	ds_bpermute_b32 v15, v20, v13
	s_wait_dscnt 0x0
	;; [unrolled: 4-line block ×3, first 2 shown]
	v_add_f64_e32 v[12:13], v[12:13], v[14:15]
	ds_bpermute_b32 v14, v22, v12
	ds_bpermute_b32 v15, v22, v13
	s_and_saveexec_b32 s4, s2
	s_cbranch_execz .LBB22_9
; %bb.8:                                ;   in Loop: Header=BB22_3 Depth=1
	s_wait_dscnt 0x0
	v_add_f64_e32 v[12:13], v[12:13], v[14:15]
	ds_store_b64 v23, v[12:13]
.LBB22_9:                               ;   in Loop: Header=BB22_3 Depth=1
	s_or_b32 exec_lo, exec_lo, s4
	v_mov_b64_e32 v[12:13], 0
	s_wait_dscnt 0x0
	s_barrier_signal -1
	s_barrier_wait -1
	s_and_saveexec_b32 s4, s3
	s_cbranch_execnz .LBB22_17
; %bb.10:                               ;   in Loop: Header=BB22_3 Depth=1
	s_or_b32 exec_lo, exec_lo, s4
	s_and_saveexec_b32 s4, s0
	s_cbranch_execnz .LBB22_18
.LBB22_11:                              ;   in Loop: Header=BB22_3 Depth=1
	s_or_b32 exec_lo, exec_lo, s4
	s_and_saveexec_b32 s4, vcc_lo
	s_cbranch_execz .LBB22_2
	s_branch .LBB22_19
.LBB22_12:                              ;   in Loop: Header=BB22_3 Depth=1
	s_mul_u64 s[30:31], s[10:11], s[24:25]
	s_delay_alu instid0(SALU_CYCLE_1) | instskip(SKIP_1) | instid1(SALU_CYCLE_1)
	v_lshl_add_u64 v[12:13], s[30:31], 3, v[4:5]
	s_mul_u64 s[30:31], s[18:19], s[24:25]
	s_lshl_b64 s[30:31], s[30:31], 3
	s_delay_alu instid0(SALU_CYCLE_1) | instskip(NEXT) | instid1(VALU_DEP_1)
	s_add_nc_u64 s[30:31], s[8:9], s[30:31]
	v_lshl_add_u64 v[12:13], s[6:7], 3, v[12:13]
	s_add_nc_u64 s[30:31], s[30:31], s[26:27]
	global_load_b64 v[14:15], v[12:13], off
	global_load_b64 v[16:17], v3, s[30:31]
	s_wait_loadcnt 0x0
	s_wait_xcnt 0x1
	v_fma_f64 v[12:13], v[14:15], v[16:17], 0
	s_wait_xcnt 0x0
	s_or_b32 exec_lo, exec_lo, s4
	s_and_saveexec_b32 s5, s1
	s_cbranch_execz .LBB22_5
.LBB22_13:                              ;   in Loop: Header=BB22_3 Depth=1
	v_mad_nc_u64_u32 v[14:15], s14, s24, v[6:7]
	v_mad_nc_u64_u32 v[16:17], s20, s24, v[10:11]
	v_mov_b32_e32 v2, v0
	s_mov_b32 s30, 0
	s_delay_alu instid0(VALU_DEP_3) | instskip(NEXT) | instid1(VALU_DEP_3)
	v_mad_u32 v15, s15, s24, v15
	v_mad_u32 v17, s21, s24, v17
	s_branch .LBB22_15
.LBB22_14:                              ;   in Loop: Header=BB22_15 Depth=2
	s_wait_xcnt 0x0
	s_or_b32 exec_lo, exec_lo, s31
	v_add_nc_u32_e32 v2, 0x200, v2
	s_delay_alu instid0(VALU_DEP_4) | instskip(NEXT) | instid1(VALU_DEP_4)
	v_add_nc_u64_e32 v[14:15], 0x1000, v[14:15]
	v_add_nc_u64_e32 v[16:17], s[16:17], v[16:17]
	s_delay_alu instid0(VALU_DEP_3) | instskip(SKIP_1) | instid1(SALU_CYCLE_1)
	v_cmp_le_i32_e64 s4, s29, v2
	s_or_b32 s30, s4, s30
	s_and_not1_b32 exec_lo, exec_lo, s30
	s_cbranch_execz .LBB22_20
.LBB22_15:                              ;   Parent Loop BB22_3 Depth=1
                                        ; =>  This Inner Loop Header: Depth=2
	s_mov_b32 s31, exec_lo
	v_cmpx_lt_i32_e64 s6, v2
	s_cbranch_execz .LBB22_14
; %bb.16:                               ;   in Loop: Header=BB22_15 Depth=2
	global_load_b64 v[24:25], v[14:15], off
	global_load_b64 v[26:27], v[16:17], off
	s_wait_loadcnt 0x0
	v_fmac_f64_e32 v[12:13], v[24:25], v[26:27]
	s_branch .LBB22_14
.LBB22_17:                              ;   in Loop: Header=BB22_3 Depth=1
	ds_load_b64 v[12:13], v18
	s_or_b32 exec_lo, exec_lo, s4
	s_and_saveexec_b32 s4, s0
	s_cbranch_execz .LBB22_11
.LBB22_18:                              ;   in Loop: Header=BB22_3 Depth=1
	s_wait_dscnt 0x0
	ds_bpermute_b32 v14, v1, v12
	ds_bpermute_b32 v15, v1, v13
	s_wait_dscnt 0x0
	v_add_f64_e32 v[12:13], v[12:13], v[14:15]
	ds_bpermute_b32 v14, v20, v12
	ds_bpermute_b32 v15, v20, v13
	s_wait_dscnt 0x0
	v_add_f64_e32 v[12:13], v[12:13], v[14:15]
	;; [unrolled: 4-line block ×4, first 2 shown]
	s_or_b32 exec_lo, exec_lo, s4
	s_and_saveexec_b32 s4, vcc_lo
	s_cbranch_execz .LBB22_2
.LBB22_19:                              ;   in Loop: Header=BB22_3 Depth=1
	s_mul_u64 s[30:31], s[22:23], s[24:25]
	s_delay_alu instid0(SALU_CYCLE_1) | instskip(NEXT) | instid1(SALU_CYCLE_1)
	s_lshl_b64 s[30:31], s[30:31], 3
	s_add_nc_u64 s[30:31], s[12:13], s[30:31]
	s_wait_dscnt 0x0
	global_store_b64 v3, v[12:13], s[30:31]
	s_branch .LBB22_2
.LBB22_20:                              ;   in Loop: Header=BB22_3 Depth=1
	s_or_b32 exec_lo, exec_lo, s30
	s_delay_alu instid0(SALU_CYCLE_1)
	s_or_b32 exec_lo, exec_lo, s5
	s_and_saveexec_b32 s4, s0
	s_cbranch_execnz .LBB22_6
	s_branch .LBB22_7
.LBB22_21:
	s_endpgm
	.section	.rodata,"a",@progbits
	.p2align	6, 0x0
	.amdhsa_kernel _ZL20rocblas_trmvt_kernelILi512ELb1ELb0ELb0EPKdPdS2_EviT3_lllT4_lllT5_li
		.amdhsa_group_segment_fixed_size 256
		.amdhsa_private_segment_fixed_size 0
		.amdhsa_kernarg_size 92
		.amdhsa_user_sgpr_count 2
		.amdhsa_user_sgpr_dispatch_ptr 0
		.amdhsa_user_sgpr_queue_ptr 0
		.amdhsa_user_sgpr_kernarg_segment_ptr 1
		.amdhsa_user_sgpr_dispatch_id 0
		.amdhsa_user_sgpr_kernarg_preload_length 0
		.amdhsa_user_sgpr_kernarg_preload_offset 0
		.amdhsa_user_sgpr_private_segment_size 0
		.amdhsa_wavefront_size32 1
		.amdhsa_uses_dynamic_stack 0
		.amdhsa_enable_private_segment 0
		.amdhsa_system_sgpr_workgroup_id_x 1
		.amdhsa_system_sgpr_workgroup_id_y 0
		.amdhsa_system_sgpr_workgroup_id_z 1
		.amdhsa_system_sgpr_workgroup_info 0
		.amdhsa_system_vgpr_workitem_id 0
		.amdhsa_next_free_vgpr 28
		.amdhsa_next_free_sgpr 32
		.amdhsa_named_barrier_count 0
		.amdhsa_reserve_vcc 1
		.amdhsa_float_round_mode_32 0
		.amdhsa_float_round_mode_16_64 0
		.amdhsa_float_denorm_mode_32 3
		.amdhsa_float_denorm_mode_16_64 3
		.amdhsa_fp16_overflow 0
		.amdhsa_memory_ordered 1
		.amdhsa_forward_progress 1
		.amdhsa_inst_pref_size 9
		.amdhsa_round_robin_scheduling 0
		.amdhsa_exception_fp_ieee_invalid_op 0
		.amdhsa_exception_fp_denorm_src 0
		.amdhsa_exception_fp_ieee_div_zero 0
		.amdhsa_exception_fp_ieee_overflow 0
		.amdhsa_exception_fp_ieee_underflow 0
		.amdhsa_exception_fp_ieee_inexact 0
		.amdhsa_exception_int_div_zero 0
	.end_amdhsa_kernel
	.section	.text._ZL20rocblas_trmvt_kernelILi512ELb1ELb0ELb0EPKdPdS2_EviT3_lllT4_lllT5_li,"axG",@progbits,_ZL20rocblas_trmvt_kernelILi512ELb1ELb0ELb0EPKdPdS2_EviT3_lllT4_lllT5_li,comdat
.Lfunc_end22:
	.size	_ZL20rocblas_trmvt_kernelILi512ELb1ELb0ELb0EPKdPdS2_EviT3_lllT4_lllT5_li, .Lfunc_end22-_ZL20rocblas_trmvt_kernelILi512ELb1ELb0ELb0EPKdPdS2_EviT3_lllT4_lllT5_li
                                        ; -- End function
	.set _ZL20rocblas_trmvt_kernelILi512ELb1ELb0ELb0EPKdPdS2_EviT3_lllT4_lllT5_li.num_vgpr, 28
	.set _ZL20rocblas_trmvt_kernelILi512ELb1ELb0ELb0EPKdPdS2_EviT3_lllT4_lllT5_li.num_agpr, 0
	.set _ZL20rocblas_trmvt_kernelILi512ELb1ELb0ELb0EPKdPdS2_EviT3_lllT4_lllT5_li.numbered_sgpr, 32
	.set _ZL20rocblas_trmvt_kernelILi512ELb1ELb0ELb0EPKdPdS2_EviT3_lllT4_lllT5_li.num_named_barrier, 0
	.set _ZL20rocblas_trmvt_kernelILi512ELb1ELb0ELb0EPKdPdS2_EviT3_lllT4_lllT5_li.private_seg_size, 0
	.set _ZL20rocblas_trmvt_kernelILi512ELb1ELb0ELb0EPKdPdS2_EviT3_lllT4_lllT5_li.uses_vcc, 1
	.set _ZL20rocblas_trmvt_kernelILi512ELb1ELb0ELb0EPKdPdS2_EviT3_lllT4_lllT5_li.uses_flat_scratch, 0
	.set _ZL20rocblas_trmvt_kernelILi512ELb1ELb0ELb0EPKdPdS2_EviT3_lllT4_lllT5_li.has_dyn_sized_stack, 0
	.set _ZL20rocblas_trmvt_kernelILi512ELb1ELb0ELb0EPKdPdS2_EviT3_lllT4_lllT5_li.has_recursion, 0
	.set _ZL20rocblas_trmvt_kernelILi512ELb1ELb0ELb0EPKdPdS2_EviT3_lllT4_lllT5_li.has_indirect_call, 0
	.section	.AMDGPU.csdata,"",@progbits
; Kernel info:
; codeLenInByte = 1152
; TotalNumSgprs: 34
; NumVgprs: 28
; ScratchSize: 0
; MemoryBound: 1
; FloatMode: 240
; IeeeMode: 1
; LDSByteSize: 256 bytes/workgroup (compile time only)
; SGPRBlocks: 0
; VGPRBlocks: 1
; NumSGPRsForWavesPerEU: 34
; NumVGPRsForWavesPerEU: 28
; NamedBarCnt: 0
; Occupancy: 16
; WaveLimiterHint : 0
; COMPUTE_PGM_RSRC2:SCRATCH_EN: 0
; COMPUTE_PGM_RSRC2:USER_SGPR: 2
; COMPUTE_PGM_RSRC2:TRAP_HANDLER: 0
; COMPUTE_PGM_RSRC2:TGID_X_EN: 1
; COMPUTE_PGM_RSRC2:TGID_Y_EN: 0
; COMPUTE_PGM_RSRC2:TGID_Z_EN: 1
; COMPUTE_PGM_RSRC2:TIDIG_COMP_CNT: 0
	.section	.text._ZL20rocblas_trmvt_kernelILi512ELb1ELb1ELb0EPKdPdS2_EviT3_lllT4_lllT5_li,"axG",@progbits,_ZL20rocblas_trmvt_kernelILi512ELb1ELb1ELb0EPKdPdS2_EviT3_lllT4_lllT5_li,comdat
	.globl	_ZL20rocblas_trmvt_kernelILi512ELb1ELb1ELb0EPKdPdS2_EviT3_lllT4_lllT5_li ; -- Begin function _ZL20rocblas_trmvt_kernelILi512ELb1ELb1ELb0EPKdPdS2_EviT3_lllT4_lllT5_li
	.p2align	8
	.type	_ZL20rocblas_trmvt_kernelILi512ELb1ELb1ELb0EPKdPdS2_EviT3_lllT4_lllT5_li,@function
_ZL20rocblas_trmvt_kernelILi512ELb1ELb1ELb0EPKdPdS2_EviT3_lllT4_lllT5_li: ; @_ZL20rocblas_trmvt_kernelILi512ELb1ELb1ELb0EPKdPdS2_EviT3_lllT4_lllT5_li
; %bb.0:
	s_load_b32 s28, s[0:1], 0x58
	s_bfe_u32 s2, ttmp6, 0x40014
	s_lshr_b32 s3, ttmp7, 16
	s_add_co_i32 s2, s2, 1
	s_bfe_u32 s5, ttmp6, 0x40008
	s_mul_i32 s4, s3, s2
	s_getreg_b32 s2, hwreg(HW_REG_IB_STS2, 6, 4)
	s_add_co_i32 s5, s5, s4
	s_cmp_eq_u32 s2, 0
	s_mov_b32 s25, 0
	s_cselect_b32 s24, s3, s5
	s_wait_kmcnt 0x0
	s_cmp_ge_u32 s24, s28
	s_cbranch_scc1 .LBB23_21
; %bb.1:
	s_clause 0x2
	s_load_b32 s29, s[0:1], 0x0
	s_load_b512 s[4:19], s[0:1], 0x8
	s_load_b128 s[20:23], s[0:1], 0x48
	v_mbcnt_lo_u32_b32 v7, -1, 0
	s_wait_xcnt 0x0
	s_bfe_u32 s0, ttmp6, 0x4000c
	v_dual_mov_b32 v3, 0 :: v_dual_bitop2_b32 v6, 31, v0 bitop3:0x40
	s_add_co_i32 s1, s0, 1
	s_and_b32 s3, ttmp6, 15
	s_mul_i32 s26, ttmp9, s1
	v_cmp_gt_u32_e64 s1, 24, v7
	v_dual_mov_b32 v1, v3 :: v_dual_lshlrev_b32 v18, 3, v6
	s_add_co_i32 s3, s3, s26
	v_lshl_or_b32 v19, v7, 2, 64
	v_cndmask_b32_e64 v8, 0, 8, s1
	v_cmp_gt_u32_e64 s0, 32, v0
	v_cmp_eq_u32_e32 vcc_lo, 0, v0
	s_wait_kmcnt 0x0
	v_cmp_gt_i32_e64 s1, s29, v0
	v_mul_u64_e32 v[10:11], s[16:17], v[0:1]
	s_lshl_b64 s[14:15], s[14:15], 3
	s_lshl_b64 s[26:27], s[6:7], 3
	s_cmp_eq_u32 s2, 0
	v_cndmask_b32_e64 v2, 0, v0, s1
	v_cmp_gt_u32_e64 s2, 28, v7
	v_add_lshl_u32 v1, v8, v7, 2
	v_lshrrev_b32_e32 v8, 2, v0
	s_cselect_b32 s6, ttmp9, s3
	v_lshlrev_b32_e32 v2, 3, v2
	v_cndmask_b32_e64 v9, 0, 4, s2
	s_add_nc_u64 s[2:3], s[4:5], s[26:27]
	s_ashr_i32 s7, s6, 31
	v_and_b32_e32 v23, 0x78, v8
	v_add_nc_u64_e32 v[4:5], s[2:3], v[2:3]
	v_cmp_gt_u32_e64 s2, 30, v7
	v_add_lshl_u32 v20, v9, v7, 2
	v_mov_b64_e32 v[8:9], 0
	s_mul_u64 s[30:31], s[16:17], s[6:7]
	s_lshl_b64 s[16:17], s[16:17], 12
	v_cndmask_b32_e64 v12, 0, 2, s2
	s_mul_u64 s[2:3], s[8:9], s[6:7]
	s_add_nc_u64 s[8:9], s[12:13], s[14:15]
	s_lshl_b64 s[12:13], s[2:3], 3
	v_cmp_ne_u32_e64 s2, 31, v7
	v_add_nc_u64_e32 v[4:5], s[12:13], v[4:5]
	s_add_nc_u64 s[12:13], s[12:13], s[26:27]
	v_add_lshl_u32 v21, v12, v7, 2
	s_add_nc_u64 s[4:5], s[4:5], s[12:13]
	v_add_co_ci_u32_e64 v13, null, 0, v7, s2
	v_cmp_eq_u32_e64 s2, 0, v6
	v_cmp_gt_u32_e64 s3, 16, v0
	v_lshl_add_u64 v[10:11], v[10:11], 3, s[8:9]
	s_delay_alu instid0(VALU_DEP_4)
	v_lshlrev_b32_e32 v22, 2, v13
	v_add_nc_u64_e32 v[6:7], s[4:5], v[2:3]
	s_lshl_b64 s[14:15], s[6:7], 3
	s_lshl_b64 s[26:27], s[30:31], 3
	s_add_nc_u64 s[12:13], s[20:21], s[14:15]
	s_lshl_b64 s[14:15], s[10:11], 3
	s_lshl_b64 s[20:21], s[18:19], 3
	s_branch .LBB23_3
.LBB23_2:                               ;   in Loop: Header=BB23_3 Depth=1
	s_wait_xcnt 0x0
	s_or_b32 exec_lo, exec_lo, s4
	s_add_co_i32 s24, s24, 0x10000
	s_delay_alu instid0(SALU_CYCLE_1)
	s_cmp_lt_u32 s24, s28
	s_cbranch_scc0 .LBB23_21
.LBB23_3:                               ; =>This Loop Header: Depth=1
                                        ;     Child Loop BB23_15 Depth 2
	s_wait_dscnt 0x0
	v_mov_b64_e32 v[12:13], 0
	s_and_saveexec_b32 s4, vcc_lo
	s_cbranch_execnz .LBB23_12
; %bb.4:                                ;   in Loop: Header=BB23_3 Depth=1
	s_or_b32 exec_lo, exec_lo, s4
	s_and_saveexec_b32 s5, s1
	s_cbranch_execnz .LBB23_13
.LBB23_5:                               ;   in Loop: Header=BB23_3 Depth=1
	s_or_b32 exec_lo, exec_lo, s5
	s_and_saveexec_b32 s4, s0
.LBB23_6:                               ;   in Loop: Header=BB23_3 Depth=1
	ds_store_b64 v18, v[8:9]
.LBB23_7:                               ;   in Loop: Header=BB23_3 Depth=1
	s_or_b32 exec_lo, exec_lo, s4
	ds_bpermute_b32 v14, v19, v12
	ds_bpermute_b32 v15, v19, v13
	s_wait_dscnt 0x0
	s_barrier_signal -1
	s_barrier_wait -1
	v_add_f64_e32 v[12:13], v[12:13], v[14:15]
	ds_bpermute_b32 v14, v1, v12
	ds_bpermute_b32 v15, v1, v13
	s_wait_dscnt 0x0
	v_add_f64_e32 v[12:13], v[12:13], v[14:15]
	ds_bpermute_b32 v14, v20, v12
	ds_bpermute_b32 v15, v20, v13
	s_wait_dscnt 0x0
	;; [unrolled: 4-line block ×3, first 2 shown]
	v_add_f64_e32 v[12:13], v[12:13], v[14:15]
	ds_bpermute_b32 v14, v22, v12
	ds_bpermute_b32 v15, v22, v13
	s_and_saveexec_b32 s4, s2
	s_cbranch_execz .LBB23_9
; %bb.8:                                ;   in Loop: Header=BB23_3 Depth=1
	s_wait_dscnt 0x0
	v_add_f64_e32 v[12:13], v[12:13], v[14:15]
	ds_store_b64 v23, v[12:13]
.LBB23_9:                               ;   in Loop: Header=BB23_3 Depth=1
	s_or_b32 exec_lo, exec_lo, s4
	v_mov_b64_e32 v[12:13], 0
	s_wait_dscnt 0x0
	s_barrier_signal -1
	s_barrier_wait -1
	s_and_saveexec_b32 s4, s3
	s_cbranch_execnz .LBB23_17
; %bb.10:                               ;   in Loop: Header=BB23_3 Depth=1
	s_or_b32 exec_lo, exec_lo, s4
	s_and_saveexec_b32 s4, s0
	s_cbranch_execnz .LBB23_18
.LBB23_11:                              ;   in Loop: Header=BB23_3 Depth=1
	s_or_b32 exec_lo, exec_lo, s4
	s_and_saveexec_b32 s4, vcc_lo
	s_cbranch_execz .LBB23_2
	s_branch .LBB23_19
.LBB23_12:                              ;   in Loop: Header=BB23_3 Depth=1
	s_mul_u64 s[30:31], s[10:11], s[24:25]
	s_delay_alu instid0(SALU_CYCLE_1) | instskip(SKIP_1) | instid1(SALU_CYCLE_1)
	v_lshl_add_u64 v[12:13], s[30:31], 3, v[4:5]
	s_mul_u64 s[30:31], s[18:19], s[24:25]
	s_lshl_b64 s[30:31], s[30:31], 3
	s_delay_alu instid0(SALU_CYCLE_1) | instskip(NEXT) | instid1(VALU_DEP_1)
	s_add_nc_u64 s[30:31], s[8:9], s[30:31]
	v_lshl_add_u64 v[12:13], s[6:7], 3, v[12:13]
	s_add_nc_u64 s[30:31], s[30:31], s[26:27]
	global_load_b64 v[14:15], v[12:13], off
	global_load_b64 v[16:17], v3, s[30:31]
	s_wait_loadcnt 0x0
	s_wait_xcnt 0x1
	v_fma_f64 v[12:13], v[14:15], v[16:17], 0
	s_wait_xcnt 0x0
	s_or_b32 exec_lo, exec_lo, s4
	s_and_saveexec_b32 s5, s1
	s_cbranch_execz .LBB23_5
.LBB23_13:                              ;   in Loop: Header=BB23_3 Depth=1
	v_mad_nc_u64_u32 v[14:15], s14, s24, v[6:7]
	v_mad_nc_u64_u32 v[16:17], s20, s24, v[10:11]
	v_mov_b32_e32 v2, v0
	s_mov_b32 s30, 0
	s_delay_alu instid0(VALU_DEP_3) | instskip(NEXT) | instid1(VALU_DEP_3)
	v_mad_u32 v15, s15, s24, v15
	v_mad_u32 v17, s21, s24, v17
	s_branch .LBB23_15
.LBB23_14:                              ;   in Loop: Header=BB23_15 Depth=2
	s_wait_xcnt 0x0
	s_or_b32 exec_lo, exec_lo, s31
	v_add_nc_u32_e32 v2, 0x200, v2
	s_delay_alu instid0(VALU_DEP_4) | instskip(NEXT) | instid1(VALU_DEP_4)
	v_add_nc_u64_e32 v[14:15], 0x1000, v[14:15]
	v_add_nc_u64_e32 v[16:17], s[16:17], v[16:17]
	s_delay_alu instid0(VALU_DEP_3) | instskip(SKIP_1) | instid1(SALU_CYCLE_1)
	v_cmp_le_i32_e64 s4, s29, v2
	s_or_b32 s30, s4, s30
	s_and_not1_b32 exec_lo, exec_lo, s30
	s_cbranch_execz .LBB23_20
.LBB23_15:                              ;   Parent Loop BB23_3 Depth=1
                                        ; =>  This Inner Loop Header: Depth=2
	s_mov_b32 s31, exec_lo
	v_cmpx_lt_i32_e64 s6, v2
	s_cbranch_execz .LBB23_14
; %bb.16:                               ;   in Loop: Header=BB23_15 Depth=2
	global_load_b64 v[24:25], v[14:15], off
	global_load_b64 v[26:27], v[16:17], off
	s_wait_loadcnt 0x0
	v_fmac_f64_e32 v[12:13], v[24:25], v[26:27]
	s_branch .LBB23_14
.LBB23_17:                              ;   in Loop: Header=BB23_3 Depth=1
	ds_load_b64 v[12:13], v18
	s_or_b32 exec_lo, exec_lo, s4
	s_and_saveexec_b32 s4, s0
	s_cbranch_execz .LBB23_11
.LBB23_18:                              ;   in Loop: Header=BB23_3 Depth=1
	s_wait_dscnt 0x0
	ds_bpermute_b32 v14, v1, v12
	ds_bpermute_b32 v15, v1, v13
	s_wait_dscnt 0x0
	v_add_f64_e32 v[12:13], v[12:13], v[14:15]
	ds_bpermute_b32 v14, v20, v12
	ds_bpermute_b32 v15, v20, v13
	s_wait_dscnt 0x0
	v_add_f64_e32 v[12:13], v[12:13], v[14:15]
	;; [unrolled: 4-line block ×4, first 2 shown]
	s_or_b32 exec_lo, exec_lo, s4
	s_and_saveexec_b32 s4, vcc_lo
	s_cbranch_execz .LBB23_2
.LBB23_19:                              ;   in Loop: Header=BB23_3 Depth=1
	s_mul_u64 s[30:31], s[22:23], s[24:25]
	s_delay_alu instid0(SALU_CYCLE_1) | instskip(NEXT) | instid1(SALU_CYCLE_1)
	s_lshl_b64 s[30:31], s[30:31], 3
	s_add_nc_u64 s[30:31], s[12:13], s[30:31]
	s_wait_dscnt 0x0
	global_store_b64 v3, v[12:13], s[30:31]
	s_branch .LBB23_2
.LBB23_20:                              ;   in Loop: Header=BB23_3 Depth=1
	s_or_b32 exec_lo, exec_lo, s30
	s_delay_alu instid0(SALU_CYCLE_1)
	s_or_b32 exec_lo, exec_lo, s5
	s_and_saveexec_b32 s4, s0
	s_cbranch_execnz .LBB23_6
	s_branch .LBB23_7
.LBB23_21:
	s_endpgm
	.section	.rodata,"a",@progbits
	.p2align	6, 0x0
	.amdhsa_kernel _ZL20rocblas_trmvt_kernelILi512ELb1ELb1ELb0EPKdPdS2_EviT3_lllT4_lllT5_li
		.amdhsa_group_segment_fixed_size 256
		.amdhsa_private_segment_fixed_size 0
		.amdhsa_kernarg_size 92
		.amdhsa_user_sgpr_count 2
		.amdhsa_user_sgpr_dispatch_ptr 0
		.amdhsa_user_sgpr_queue_ptr 0
		.amdhsa_user_sgpr_kernarg_segment_ptr 1
		.amdhsa_user_sgpr_dispatch_id 0
		.amdhsa_user_sgpr_kernarg_preload_length 0
		.amdhsa_user_sgpr_kernarg_preload_offset 0
		.amdhsa_user_sgpr_private_segment_size 0
		.amdhsa_wavefront_size32 1
		.amdhsa_uses_dynamic_stack 0
		.amdhsa_enable_private_segment 0
		.amdhsa_system_sgpr_workgroup_id_x 1
		.amdhsa_system_sgpr_workgroup_id_y 0
		.amdhsa_system_sgpr_workgroup_id_z 1
		.amdhsa_system_sgpr_workgroup_info 0
		.amdhsa_system_vgpr_workitem_id 0
		.amdhsa_next_free_vgpr 28
		.amdhsa_next_free_sgpr 32
		.amdhsa_named_barrier_count 0
		.amdhsa_reserve_vcc 1
		.amdhsa_float_round_mode_32 0
		.amdhsa_float_round_mode_16_64 0
		.amdhsa_float_denorm_mode_32 3
		.amdhsa_float_denorm_mode_16_64 3
		.amdhsa_fp16_overflow 0
		.amdhsa_memory_ordered 1
		.amdhsa_forward_progress 1
		.amdhsa_inst_pref_size 9
		.amdhsa_round_robin_scheduling 0
		.amdhsa_exception_fp_ieee_invalid_op 0
		.amdhsa_exception_fp_denorm_src 0
		.amdhsa_exception_fp_ieee_div_zero 0
		.amdhsa_exception_fp_ieee_overflow 0
		.amdhsa_exception_fp_ieee_underflow 0
		.amdhsa_exception_fp_ieee_inexact 0
		.amdhsa_exception_int_div_zero 0
	.end_amdhsa_kernel
	.section	.text._ZL20rocblas_trmvt_kernelILi512ELb1ELb1ELb0EPKdPdS2_EviT3_lllT4_lllT5_li,"axG",@progbits,_ZL20rocblas_trmvt_kernelILi512ELb1ELb1ELb0EPKdPdS2_EviT3_lllT4_lllT5_li,comdat
.Lfunc_end23:
	.size	_ZL20rocblas_trmvt_kernelILi512ELb1ELb1ELb0EPKdPdS2_EviT3_lllT4_lllT5_li, .Lfunc_end23-_ZL20rocblas_trmvt_kernelILi512ELb1ELb1ELb0EPKdPdS2_EviT3_lllT4_lllT5_li
                                        ; -- End function
	.set _ZL20rocblas_trmvt_kernelILi512ELb1ELb1ELb0EPKdPdS2_EviT3_lllT4_lllT5_li.num_vgpr, 28
	.set _ZL20rocblas_trmvt_kernelILi512ELb1ELb1ELb0EPKdPdS2_EviT3_lllT4_lllT5_li.num_agpr, 0
	.set _ZL20rocblas_trmvt_kernelILi512ELb1ELb1ELb0EPKdPdS2_EviT3_lllT4_lllT5_li.numbered_sgpr, 32
	.set _ZL20rocblas_trmvt_kernelILi512ELb1ELb1ELb0EPKdPdS2_EviT3_lllT4_lllT5_li.num_named_barrier, 0
	.set _ZL20rocblas_trmvt_kernelILi512ELb1ELb1ELb0EPKdPdS2_EviT3_lllT4_lllT5_li.private_seg_size, 0
	.set _ZL20rocblas_trmvt_kernelILi512ELb1ELb1ELb0EPKdPdS2_EviT3_lllT4_lllT5_li.uses_vcc, 1
	.set _ZL20rocblas_trmvt_kernelILi512ELb1ELb1ELb0EPKdPdS2_EviT3_lllT4_lllT5_li.uses_flat_scratch, 0
	.set _ZL20rocblas_trmvt_kernelILi512ELb1ELb1ELb0EPKdPdS2_EviT3_lllT4_lllT5_li.has_dyn_sized_stack, 0
	.set _ZL20rocblas_trmvt_kernelILi512ELb1ELb1ELb0EPKdPdS2_EviT3_lllT4_lllT5_li.has_recursion, 0
	.set _ZL20rocblas_trmvt_kernelILi512ELb1ELb1ELb0EPKdPdS2_EviT3_lllT4_lllT5_li.has_indirect_call, 0
	.section	.AMDGPU.csdata,"",@progbits
; Kernel info:
; codeLenInByte = 1152
; TotalNumSgprs: 34
; NumVgprs: 28
; ScratchSize: 0
; MemoryBound: 1
; FloatMode: 240
; IeeeMode: 1
; LDSByteSize: 256 bytes/workgroup (compile time only)
; SGPRBlocks: 0
; VGPRBlocks: 1
; NumSGPRsForWavesPerEU: 34
; NumVGPRsForWavesPerEU: 28
; NamedBarCnt: 0
; Occupancy: 16
; WaveLimiterHint : 0
; COMPUTE_PGM_RSRC2:SCRATCH_EN: 0
; COMPUTE_PGM_RSRC2:USER_SGPR: 2
; COMPUTE_PGM_RSRC2:TRAP_HANDLER: 0
; COMPUTE_PGM_RSRC2:TGID_X_EN: 1
; COMPUTE_PGM_RSRC2:TGID_Y_EN: 0
; COMPUTE_PGM_RSRC2:TGID_Z_EN: 1
; COMPUTE_PGM_RSRC2:TIDIG_COMP_CNT: 0
	.section	.text._ZL20rocblas_trmvn_kernelILi64ELi16ELb0ELb1EPK19rocblas_complex_numIfEPS1_S4_EviT3_lllT4_lllT5_li,"axG",@progbits,_ZL20rocblas_trmvn_kernelILi64ELi16ELb0ELb1EPK19rocblas_complex_numIfEPS1_S4_EviT3_lllT4_lllT5_li,comdat
	.globl	_ZL20rocblas_trmvn_kernelILi64ELi16ELb0ELb1EPK19rocblas_complex_numIfEPS1_S4_EviT3_lllT4_lllT5_li ; -- Begin function _ZL20rocblas_trmvn_kernelILi64ELi16ELb0ELb1EPK19rocblas_complex_numIfEPS1_S4_EviT3_lllT4_lllT5_li
	.p2align	8
	.type	_ZL20rocblas_trmvn_kernelILi64ELi16ELb0ELb1EPK19rocblas_complex_numIfEPS1_S4_EviT3_lllT4_lllT5_li,@function
_ZL20rocblas_trmvn_kernelILi64ELi16ELb0ELb1EPK19rocblas_complex_numIfEPS1_S4_EviT3_lllT4_lllT5_li: ; @_ZL20rocblas_trmvn_kernelILi64ELi16ELb0ELb1EPK19rocblas_complex_numIfEPS1_S4_EviT3_lllT4_lllT5_li
; %bb.0:
	s_load_b32 s3, s[0:1], 0x58
	s_bfe_u32 s2, ttmp6, 0x40014
	s_lshr_b32 s4, ttmp7, 16
	s_add_co_i32 s2, s2, 1
	s_bfe_u32 s6, ttmp6, 0x40008
	s_mul_i32 s5, s4, s2
	s_getreg_b32 s2, hwreg(HW_REG_IB_STS2, 6, 4)
	s_add_co_i32 s6, s6, s5
	s_cmp_eq_u32 s2, 0
	s_mov_b32 s25, 0
	s_cselect_b32 s24, s4, s6
	s_wait_kmcnt 0x0
	s_cmp_ge_u32 s24, s3
	s_cbranch_scc1 .LBB24_14
; %bb.1:
	s_clause 0x1
	s_load_b512 s[4:19], s[0:1], 0x8
	s_load_b32 s20, s[0:1], 0x6c
	s_bfe_u32 s21, ttmp6, 0x4000c
	v_and_b32_e32 v12, 0x3ff, v0
	s_add_co_i32 s21, s21, 1
	v_bfe_u32 v2, v0, 10, 10
	s_delay_alu instid0(VALU_DEP_1)
	v_dual_lshlrev_b32 v14, 3, v12 :: v_dual_lshlrev_b32 v15, 9, v2
	s_wait_kmcnt 0x0
	s_lshl_b64 s[26:27], s[14:15], 3
	s_and_b32 s15, s20, 0xffff
	s_and_b32 s14, ttmp6, 15
	s_mul_i32 s20, ttmp9, s21
	s_delay_alu instid0(SALU_CYCLE_1)
	s_add_co_i32 s14, s14, s20
	s_cmp_eq_u32 s2, 0
	s_load_b128 s[20:23], s[0:1], 0x48
	s_cselect_b32 s2, ttmp9, s14
	s_load_b32 s14, s[0:1], 0x0
	v_lshl_add_u32 v0, s2, 6, v12
	v_mov_b32_e32 v3, 0
	s_lshl_b64 s[28:29], s[6:7], 3
	s_wait_xcnt 0x0
	v_cmp_eq_u32_e64 s0, 0, v2
	s_add_nc_u64 s[6:7], s[12:13], s[26:27]
	v_ashrrev_i32_e32 v1, 31, v0
	v_mul_u64_e32 v[6:7], s[8:9], v[2:3]
	v_mul_u64_e32 v[8:9], s[16:17], v[2:3]
	v_mad_u32_u24 v3, v2, s15, v12
	s_lshl_b64 s[12:13], s[16:17], 7
	v_mul_u64_e32 v[4:5], s[16:17], v[0:1]
	v_lshlrev_b64_e32 v[10:11], 3, v[0:1]
	v_mul_u32_u24_e32 v1, s15, v2
	v_cmp_gt_u32_e64 s1, 64, v3
	v_add_nc_u32_e32 v3, v14, v15
	s_lshl_b64 s[10:11], s[10:11], 3
	s_lshl_b64 s[8:9], s[8:9], 7
	v_lshl_add_u32 v1, v1, 3, v14
	s_wait_kmcnt 0x0
	v_cmp_gt_i32_e32 vcc_lo, s14, v0
	s_and_b32 s15, s0, vcc_lo
	v_cmp_gt_i32_e64 s0, s14, v2
	v_lshl_add_u64 v[6:7], v[6:7], 3, s[28:29]
	v_lshl_add_u64 v[8:9], v[8:9], 3, s[6:7]
	s_delay_alu instid0(VALU_DEP_2) | instskip(SKIP_1) | instid1(VALU_DEP_2)
	v_add_nc_u64_e32 v[12:13], v[6:7], v[10:11]
	v_add_nc_u64_e32 v[6:7], s[20:21], v[10:11]
	v_add_nc_u64_e32 v[10:11], s[4:5], v[12:13]
	s_lshl_b64 s[4:5], s[18:19], 3
	s_branch .LBB24_3
.LBB24_2:                               ;   in Loop: Header=BB24_3 Depth=1
	s_wait_xcnt 0x0
	s_or_b32 exec_lo, exec_lo, s2
	s_add_co_i32 s24, s24, 0x10000
	s_delay_alu instid0(SALU_CYCLE_1)
	s_cmp_lt_u32 s24, s3
	s_cbranch_scc0 .LBB24_14
.LBB24_3:                               ; =>This Loop Header: Depth=1
                                        ;     Child Loop BB24_8 Depth 2
	v_mov_b64_e32 v[12:13], 0
	s_and_saveexec_b32 s2, s15
	s_cbranch_execz .LBB24_5
; %bb.4:                                ;   in Loop: Header=BB24_3 Depth=1
	s_mul_u64 s[16:17], s[18:19], s[24:25]
	s_delay_alu instid0(SALU_CYCLE_1) | instskip(NEXT) | instid1(SALU_CYCLE_1)
	s_lshl_b64 s[16:17], s[16:17], 3
	s_add_nc_u64 s[16:17], s[6:7], s[16:17]
	s_delay_alu instid0(SALU_CYCLE_1)
	v_lshl_add_u64 v[12:13], v[4:5], 3, s[16:17]
	global_load_b64 v[12:13], v[12:13], off
.LBB24_5:                               ;   in Loop: Header=BB24_3 Depth=1
	s_wait_xcnt 0x0
	s_or_b32 exec_lo, exec_lo, s2
	s_and_saveexec_b32 s16, s0
	s_cbranch_execz .LBB24_11
; %bb.6:                                ;   in Loop: Header=BB24_3 Depth=1
	v_mad_nc_u64_u32 v[14:15], s4, s24, v[8:9]
	v_mad_nc_u64_u32 v[16:17], s10, s24, v[10:11]
	v_mov_b32_e32 v18, v2
	s_mov_b32 s17, 0
	s_delay_alu instid0(VALU_DEP_3) | instskip(NEXT) | instid1(VALU_DEP_3)
	v_mad_u32 v15, s5, s24, v15
	v_mad_u32 v17, s11, s24, v17
	s_branch .LBB24_8
.LBB24_7:                               ;   in Loop: Header=BB24_8 Depth=2
	s_wait_xcnt 0x0
	s_or_b32 exec_lo, exec_lo, s20
	v_add_nc_u32_e32 v18, 16, v18
	s_delay_alu instid0(VALU_DEP_4) | instskip(NEXT) | instid1(VALU_DEP_4)
	v_add_nc_u64_e32 v[14:15], s[12:13], v[14:15]
	v_add_nc_u64_e32 v[16:17], s[8:9], v[16:17]
	s_delay_alu instid0(VALU_DEP_3) | instskip(SKIP_1) | instid1(SALU_CYCLE_1)
	v_cmp_le_i32_e64 s2, s14, v18
	s_or_b32 s17, s2, s17
	s_and_not1_b32 exec_lo, exec_lo, s17
	s_cbranch_execz .LBB24_10
.LBB24_8:                               ;   Parent Loop BB24_3 Depth=1
                                        ; =>  This Inner Loop Header: Depth=2
	s_mov_b32 s20, exec_lo
	v_cmpx_gt_i32_e64 v18, v0
	s_cbranch_execz .LBB24_7
; %bb.9:                                ;   in Loop: Header=BB24_8 Depth=2
	global_load_b64 v[20:21], v[16:17], off
	global_load_b64 v[22:23], v[14:15], off
	s_wait_loadcnt 0x0
	v_pk_mul_f32 v[24:25], v[22:23], v[20:21] op_sel:[1,1] op_sel_hi:[0,1]
	s_delay_alu instid0(VALU_DEP_1) | instskip(SKIP_1) | instid1(VALU_DEP_2)
	v_pk_fma_f32 v[26:27], v[22:23], v[20:21], v[24:25] op_sel_hi:[1,0,1]
	v_pk_fma_f32 v[20:21], v[22:23], v[20:21], v[24:25] neg_lo:[0,0,1] neg_hi:[0,0,1]
	v_mov_b32_e32 v21, v27
	s_delay_alu instid0(VALU_DEP_1)
	v_pk_add_f32 v[12:13], v[12:13], v[20:21]
	s_branch .LBB24_7
.LBB24_10:                              ;   in Loop: Header=BB24_3 Depth=1
	s_or_b32 exec_lo, exec_lo, s17
.LBB24_11:                              ;   in Loop: Header=BB24_3 Depth=1
	s_delay_alu instid0(SALU_CYCLE_1)
	s_or_b32 exec_lo, exec_lo, s16
	s_wait_loadcnt 0x0
	ds_store_b64 v3, v[12:13]
	s_wait_dscnt 0x0
	s_barrier_signal -1
	s_barrier_wait -1
	s_and_saveexec_b32 s2, s1
	s_cbranch_execz .LBB24_2
; %bb.12:                               ;   in Loop: Header=BB24_3 Depth=1
	ds_load_2addr_stride64_b64 v[12:15], v1 offset1:1
	ds_load_2addr_stride64_b64 v[16:19], v1 offset0:2 offset1:3
	ds_load_2addr_stride64_b64 v[20:23], v1 offset0:4 offset1:5
	s_wait_dscnt 0x2
	v_pk_add_f32 v[24:25], v[12:13], v[14:15]
	ds_load_2addr_stride64_b64 v[12:15], v1 offset0:6 offset1:7
	s_wait_dscnt 0x2
	v_pk_add_f32 v[16:17], v[24:25], v[16:17]
	s_delay_alu instid0(VALU_DEP_1) | instskip(SKIP_3) | instid1(VALU_DEP_1)
	v_pk_add_f32 v[24:25], v[16:17], v[18:19]
	ds_load_2addr_stride64_b64 v[16:19], v1 offset0:8 offset1:9
	s_wait_dscnt 0x2
	v_pk_add_f32 v[20:21], v[24:25], v[20:21]
	v_pk_add_f32 v[24:25], v[20:21], v[22:23]
	ds_load_2addr_stride64_b64 v[20:23], v1 offset0:10 offset1:11
	s_wait_dscnt 0x2
	v_pk_add_f32 v[12:13], v[24:25], v[12:13]
	s_delay_alu instid0(VALU_DEP_1) | instskip(SKIP_1) | instid1(VALU_DEP_1)
	v_pk_add_f32 v[12:13], v[12:13], v[14:15]
	s_wait_dscnt 0x1
	v_pk_add_f32 v[16:17], v[12:13], v[16:17]
	ds_load_2addr_stride64_b64 v[12:15], v1 offset0:12 offset1:13
	v_pk_add_f32 v[16:17], v[16:17], v[18:19]
	s_wait_dscnt 0x1
	s_delay_alu instid0(VALU_DEP_1) | instskip(SKIP_3) | instid1(VALU_DEP_1)
	v_pk_add_f32 v[20:21], v[16:17], v[20:21]
	ds_load_2addr_stride64_b64 v[16:19], v1 offset0:14 offset1:15
	v_pk_add_f32 v[20:21], v[20:21], v[22:23]
	s_wait_dscnt 0x1
	v_pk_add_f32 v[12:13], v[20:21], v[12:13]
	s_delay_alu instid0(VALU_DEP_1) | instskip(SKIP_1) | instid1(VALU_DEP_1)
	v_pk_add_f32 v[12:13], v[12:13], v[14:15]
	s_wait_dscnt 0x0
	v_pk_add_f32 v[12:13], v[12:13], v[16:17]
	s_delay_alu instid0(VALU_DEP_1)
	v_pk_add_f32 v[12:13], v[12:13], v[18:19]
	ds_store_b64 v1, v[12:13]
	s_and_b32 exec_lo, exec_lo, vcc_lo
	s_cbranch_execz .LBB24_2
; %bb.13:                               ;   in Loop: Header=BB24_3 Depth=1
	s_mul_u64 s[16:17], s[22:23], s[24:25]
	s_delay_alu instid0(SALU_CYCLE_1)
	v_lshl_add_u64 v[14:15], s[16:17], 3, v[6:7]
	global_store_b64 v[14:15], v[12:13], off
	s_branch .LBB24_2
.LBB24_14:
	s_endpgm
	.section	.rodata,"a",@progbits
	.p2align	6, 0x0
	.amdhsa_kernel _ZL20rocblas_trmvn_kernelILi64ELi16ELb0ELb1EPK19rocblas_complex_numIfEPS1_S4_EviT3_lllT4_lllT5_li
		.amdhsa_group_segment_fixed_size 8192
		.amdhsa_private_segment_fixed_size 0
		.amdhsa_kernarg_size 352
		.amdhsa_user_sgpr_count 2
		.amdhsa_user_sgpr_dispatch_ptr 0
		.amdhsa_user_sgpr_queue_ptr 0
		.amdhsa_user_sgpr_kernarg_segment_ptr 1
		.amdhsa_user_sgpr_dispatch_id 0
		.amdhsa_user_sgpr_kernarg_preload_length 0
		.amdhsa_user_sgpr_kernarg_preload_offset 0
		.amdhsa_user_sgpr_private_segment_size 0
		.amdhsa_wavefront_size32 1
		.amdhsa_uses_dynamic_stack 0
		.amdhsa_enable_private_segment 0
		.amdhsa_system_sgpr_workgroup_id_x 1
		.amdhsa_system_sgpr_workgroup_id_y 0
		.amdhsa_system_sgpr_workgroup_id_z 1
		.amdhsa_system_sgpr_workgroup_info 0
		.amdhsa_system_vgpr_workitem_id 1
		.amdhsa_next_free_vgpr 28
		.amdhsa_next_free_sgpr 30
		.amdhsa_named_barrier_count 0
		.amdhsa_reserve_vcc 1
		.amdhsa_float_round_mode_32 0
		.amdhsa_float_round_mode_16_64 0
		.amdhsa_float_denorm_mode_32 3
		.amdhsa_float_denorm_mode_16_64 3
		.amdhsa_fp16_overflow 0
		.amdhsa_memory_ordered 1
		.amdhsa_forward_progress 1
		.amdhsa_inst_pref_size 8
		.amdhsa_round_robin_scheduling 0
		.amdhsa_exception_fp_ieee_invalid_op 0
		.amdhsa_exception_fp_denorm_src 0
		.amdhsa_exception_fp_ieee_div_zero 0
		.amdhsa_exception_fp_ieee_overflow 0
		.amdhsa_exception_fp_ieee_underflow 0
		.amdhsa_exception_fp_ieee_inexact 0
		.amdhsa_exception_int_div_zero 0
	.end_amdhsa_kernel
	.section	.text._ZL20rocblas_trmvn_kernelILi64ELi16ELb0ELb1EPK19rocblas_complex_numIfEPS1_S4_EviT3_lllT4_lllT5_li,"axG",@progbits,_ZL20rocblas_trmvn_kernelILi64ELi16ELb0ELb1EPK19rocblas_complex_numIfEPS1_S4_EviT3_lllT4_lllT5_li,comdat
.Lfunc_end24:
	.size	_ZL20rocblas_trmvn_kernelILi64ELi16ELb0ELb1EPK19rocblas_complex_numIfEPS1_S4_EviT3_lllT4_lllT5_li, .Lfunc_end24-_ZL20rocblas_trmvn_kernelILi64ELi16ELb0ELb1EPK19rocblas_complex_numIfEPS1_S4_EviT3_lllT4_lllT5_li
                                        ; -- End function
	.set _ZL20rocblas_trmvn_kernelILi64ELi16ELb0ELb1EPK19rocblas_complex_numIfEPS1_S4_EviT3_lllT4_lllT5_li.num_vgpr, 28
	.set _ZL20rocblas_trmvn_kernelILi64ELi16ELb0ELb1EPK19rocblas_complex_numIfEPS1_S4_EviT3_lllT4_lllT5_li.num_agpr, 0
	.set _ZL20rocblas_trmvn_kernelILi64ELi16ELb0ELb1EPK19rocblas_complex_numIfEPS1_S4_EviT3_lllT4_lllT5_li.numbered_sgpr, 30
	.set _ZL20rocblas_trmvn_kernelILi64ELi16ELb0ELb1EPK19rocblas_complex_numIfEPS1_S4_EviT3_lllT4_lllT5_li.num_named_barrier, 0
	.set _ZL20rocblas_trmvn_kernelILi64ELi16ELb0ELb1EPK19rocblas_complex_numIfEPS1_S4_EviT3_lllT4_lllT5_li.private_seg_size, 0
	.set _ZL20rocblas_trmvn_kernelILi64ELi16ELb0ELb1EPK19rocblas_complex_numIfEPS1_S4_EviT3_lllT4_lllT5_li.uses_vcc, 1
	.set _ZL20rocblas_trmvn_kernelILi64ELi16ELb0ELb1EPK19rocblas_complex_numIfEPS1_S4_EviT3_lllT4_lllT5_li.uses_flat_scratch, 0
	.set _ZL20rocblas_trmvn_kernelILi64ELi16ELb0ELb1EPK19rocblas_complex_numIfEPS1_S4_EviT3_lllT4_lllT5_li.has_dyn_sized_stack, 0
	.set _ZL20rocblas_trmvn_kernelILi64ELi16ELb0ELb1EPK19rocblas_complex_numIfEPS1_S4_EviT3_lllT4_lllT5_li.has_recursion, 0
	.set _ZL20rocblas_trmvn_kernelILi64ELi16ELb0ELb1EPK19rocblas_complex_numIfEPS1_S4_EviT3_lllT4_lllT5_li.has_indirect_call, 0
	.section	.AMDGPU.csdata,"",@progbits
; Kernel info:
; codeLenInByte = 960
; TotalNumSgprs: 32
; NumVgprs: 28
; ScratchSize: 0
; MemoryBound: 0
; FloatMode: 240
; IeeeMode: 1
; LDSByteSize: 8192 bytes/workgroup (compile time only)
; SGPRBlocks: 0
; VGPRBlocks: 1
; NumSGPRsForWavesPerEU: 32
; NumVGPRsForWavesPerEU: 28
; NamedBarCnt: 0
; Occupancy: 16
; WaveLimiterHint : 0
; COMPUTE_PGM_RSRC2:SCRATCH_EN: 0
; COMPUTE_PGM_RSRC2:USER_SGPR: 2
; COMPUTE_PGM_RSRC2:TRAP_HANDLER: 0
; COMPUTE_PGM_RSRC2:TGID_X_EN: 1
; COMPUTE_PGM_RSRC2:TGID_Y_EN: 0
; COMPUTE_PGM_RSRC2:TGID_Z_EN: 1
; COMPUTE_PGM_RSRC2:TIDIG_COMP_CNT: 1
	.section	.text._ZL20rocblas_trmvt_kernelILi512ELb0ELb0ELb1EPK19rocblas_complex_numIfEPS1_S4_EviT3_lllT4_lllT5_li,"axG",@progbits,_ZL20rocblas_trmvt_kernelILi512ELb0ELb0ELb1EPK19rocblas_complex_numIfEPS1_S4_EviT3_lllT4_lllT5_li,comdat
	.globl	_ZL20rocblas_trmvt_kernelILi512ELb0ELb0ELb1EPK19rocblas_complex_numIfEPS1_S4_EviT3_lllT4_lllT5_li ; -- Begin function _ZL20rocblas_trmvt_kernelILi512ELb0ELb0ELb1EPK19rocblas_complex_numIfEPS1_S4_EviT3_lllT4_lllT5_li
	.p2align	8
	.type	_ZL20rocblas_trmvt_kernelILi512ELb0ELb0ELb1EPK19rocblas_complex_numIfEPS1_S4_EviT3_lllT4_lllT5_li,@function
_ZL20rocblas_trmvt_kernelILi512ELb0ELb0ELb1EPK19rocblas_complex_numIfEPS1_S4_EviT3_lllT4_lllT5_li: ; @_ZL20rocblas_trmvt_kernelILi512ELb0ELb0ELb1EPK19rocblas_complex_numIfEPS1_S4_EviT3_lllT4_lllT5_li
; %bb.0:
	s_load_b32 s26, s[0:1], 0x58
	s_bfe_u32 s2, ttmp6, 0x40014
	s_lshr_b32 s3, ttmp7, 16
	s_add_co_i32 s2, s2, 1
	s_bfe_u32 s5, ttmp6, 0x40008
	s_mul_i32 s4, s3, s2
	s_getreg_b32 s2, hwreg(HW_REG_IB_STS2, 6, 4)
	s_add_co_i32 s5, s5, s4
	s_cmp_eq_u32 s2, 0
	s_mov_b32 s25, 0
	s_cselect_b32 s24, s3, s5
	s_wait_kmcnt 0x0
	s_cmp_ge_u32 s24, s26
	s_cbranch_scc1 .LBB25_21
; %bb.1:
	s_clause 0x2
	s_load_b512 s[4:19], s[0:1], 0x8
	s_load_b32 s27, s[0:1], 0x0
	s_load_b128 s[20:23], s[0:1], 0x48
	v_dual_mov_b32 v3, 0 :: v_dual_bitop2_b32 v2, 31, v0 bitop3:0x40
	s_wait_xcnt 0x0
	s_bfe_u32 s0, ttmp6, 0x4000c
	v_mbcnt_lo_u32_b32 v4, -1, 0
	s_add_co_i32 s1, s0, 1
	v_dual_mov_b32 v1, v3 :: v_dual_lshlrev_b32 v16, 3, v2
	s_and_b32 s3, ttmp6, 15
	s_mul_i32 s28, ttmp9, s1
	v_cmp_gt_u32_e64 s1, 24, v4
	s_add_co_i32 s3, s3, s28
	v_lshl_or_b32 v17, v4, 2, 64
	v_cmp_gt_u32_e64 s0, 32, v0
	v_cmp_eq_u32_e32 vcc_lo, 0, v0
	v_cndmask_b32_e64 v5, 0, 8, s1
	s_wait_kmcnt 0x0
	v_mul_u64_e32 v[8:9], s[16:17], v[0:1]
	s_lshl_b64 s[28:29], s[14:15], 3
	s_cmp_eq_u32 s2, 0
	v_cmp_gt_u32_e64 s2, 28, v4
	v_cmp_gt_i32_e64 s1, s27, v0
	s_cselect_b32 s14, ttmp9, s3
	s_lshl_b64 s[6:7], s[6:7], 3
	s_ashr_i32 s15, s14, 31
	v_cndmask_b32_e64 v7, 0, 4, s2
	v_cmp_gt_u32_e64 s2, 30, v4
	v_cndmask_b32_e64 v6, 0, v0, s1
	s_mul_u64 s[8:9], s[8:9], s[14:15]
	v_add_lshl_u32 v1, v5, v4, 2
	s_lshl_b64 s[8:9], s[8:9], 3
	v_cndmask_b32_e64 v10, 0, 2, s2
	v_cmp_ne_u32_e64 s2, 31, v4
	v_lshrrev_b32_e32 v5, 2, v0
	s_add_nc_u64 s[6:7], s[8:9], s[6:7]
	s_add_nc_u64 s[12:13], s[12:13], s[28:29]
	;; [unrolled: 1-line block ×3, first 2 shown]
	v_add_co_ci_u32_e64 v11, null, 0, v4, s2
	v_cmp_eq_u32_e64 s2, 0, v2
	v_lshlrev_b32_e32 v2, 3, v6
	v_add_lshl_u32 v18, v7, v4, 2
	s_delay_alu instid0(VALU_DEP_4)
	v_lshlrev_b32_e32 v20, 2, v11
	v_add_lshl_u32 v19, v10, v4, 2
	v_and_b32_e32 v21, 0x78, v5
	v_add_nc_u64_e32 v[4:5], s[4:5], v[2:3]
	v_mov_b64_e32 v[6:7], 0
	v_cmp_gt_u32_e64 s3, 16, v0
	s_mul_u64 s[28:29], s[16:17], s[14:15]
	v_lshl_add_u64 v[8:9], v[8:9], 3, s[12:13]
	s_lshl_b64 s[8:9], s[14:15], 3
	s_lshl_b64 s[16:17], s[16:17], 12
	s_add_nc_u64 s[6:7], s[20:21], s[8:9]
	s_lshl_b64 s[8:9], s[10:11], 3
	s_lshl_b64 s[10:11], s[18:19], 3
	;; [unrolled: 1-line block ×3, first 2 shown]
	s_branch .LBB25_3
.LBB25_2:                               ;   in Loop: Header=BB25_3 Depth=1
	s_wait_xcnt 0x0
	s_or_b32 exec_lo, exec_lo, s4
	s_add_co_i32 s24, s24, 0x10000
	s_delay_alu instid0(SALU_CYCLE_1)
	s_cmp_lt_u32 s24, s26
	s_cbranch_scc0 .LBB25_21
.LBB25_3:                               ; =>This Loop Header: Depth=1
                                        ;     Child Loop BB25_15 Depth 2
	s_wait_dscnt 0x0
	v_mov_b64_e32 v[10:11], 0
	s_and_saveexec_b32 s4, vcc_lo
	s_cbranch_execnz .LBB25_12
; %bb.4:                                ;   in Loop: Header=BB25_3 Depth=1
	s_or_b32 exec_lo, exec_lo, s4
	s_and_saveexec_b32 s5, s1
	s_cbranch_execnz .LBB25_13
.LBB25_5:                               ;   in Loop: Header=BB25_3 Depth=1
	s_or_b32 exec_lo, exec_lo, s5
	s_and_saveexec_b32 s4, s0
.LBB25_6:                               ;   in Loop: Header=BB25_3 Depth=1
	ds_store_b64 v16, v[6:7]
.LBB25_7:                               ;   in Loop: Header=BB25_3 Depth=1
	s_or_b32 exec_lo, exec_lo, s4
	ds_bpermute_b32 v12, v17, v10
	ds_bpermute_b32 v13, v17, v11
	s_wait_dscnt 0x0
	s_barrier_signal -1
	s_barrier_wait -1
	v_pk_add_f32 v[10:11], v[10:11], v[12:13]
	ds_bpermute_b32 v12, v1, v10
	ds_bpermute_b32 v13, v1, v11
	s_wait_dscnt 0x0
	v_pk_add_f32 v[10:11], v[10:11], v[12:13]
	ds_bpermute_b32 v12, v18, v10
	ds_bpermute_b32 v13, v18, v11
	s_wait_dscnt 0x0
	;; [unrolled: 4-line block ×3, first 2 shown]
	v_pk_add_f32 v[10:11], v[10:11], v[12:13]
	ds_bpermute_b32 v12, v20, v10
	ds_bpermute_b32 v13, v20, v11
	s_and_saveexec_b32 s4, s2
	s_cbranch_execz .LBB25_9
; %bb.8:                                ;   in Loop: Header=BB25_3 Depth=1
	s_wait_dscnt 0x0
	v_pk_add_f32 v[10:11], v[10:11], v[12:13]
	ds_store_b64 v21, v[10:11]
.LBB25_9:                               ;   in Loop: Header=BB25_3 Depth=1
	s_or_b32 exec_lo, exec_lo, s4
	v_mov_b64_e32 v[10:11], 0
	s_wait_dscnt 0x0
	s_barrier_signal -1
	s_barrier_wait -1
	s_and_saveexec_b32 s4, s3
	s_cbranch_execnz .LBB25_17
; %bb.10:                               ;   in Loop: Header=BB25_3 Depth=1
	s_or_b32 exec_lo, exec_lo, s4
	s_and_saveexec_b32 s4, s0
	s_cbranch_execnz .LBB25_18
.LBB25_11:                              ;   in Loop: Header=BB25_3 Depth=1
	s_or_b32 exec_lo, exec_lo, s4
	s_and_saveexec_b32 s4, vcc_lo
	s_cbranch_execz .LBB25_2
	s_branch .LBB25_19
.LBB25_12:                              ;   in Loop: Header=BB25_3 Depth=1
	s_mul_u64 s[28:29], s[18:19], s[24:25]
	s_delay_alu instid0(SALU_CYCLE_1) | instskip(NEXT) | instid1(SALU_CYCLE_1)
	s_lshl_b64 s[28:29], s[28:29], 3
	s_add_nc_u64 s[28:29], s[12:13], s[28:29]
	s_delay_alu instid0(SALU_CYCLE_1)
	s_add_nc_u64 s[28:29], s[28:29], s[20:21]
	global_load_b64 v[10:11], v3, s[28:29]
	s_wait_loadcnt 0x0
	v_pk_add_f32 v[10:11], v[10:11], 0 op_sel_hi:[1,0]
	s_wait_xcnt 0x0
	s_or_b32 exec_lo, exec_lo, s4
	s_and_saveexec_b32 s5, s1
	s_cbranch_execz .LBB25_5
.LBB25_13:                              ;   in Loop: Header=BB25_3 Depth=1
	v_mad_nc_u64_u32 v[12:13], s8, s24, v[4:5]
	v_mad_nc_u64_u32 v[14:15], s10, s24, v[8:9]
	v_mov_b32_e32 v2, v0
	s_mov_b32 s15, 0
	s_delay_alu instid0(VALU_DEP_3) | instskip(NEXT) | instid1(VALU_DEP_3)
	v_mad_u32 v13, s9, s24, v13
	v_mad_u32 v15, s11, s24, v15
	s_branch .LBB25_15
.LBB25_14:                              ;   in Loop: Header=BB25_15 Depth=2
	s_wait_xcnt 0x0
	s_or_b32 exec_lo, exec_lo, s28
	v_add_nc_u32_e32 v2, 0x200, v2
	s_delay_alu instid0(VALU_DEP_4) | instskip(NEXT) | instid1(VALU_DEP_4)
	v_add_nc_u64_e32 v[12:13], 0x1000, v[12:13]
	v_add_nc_u64_e32 v[14:15], s[16:17], v[14:15]
	s_delay_alu instid0(VALU_DEP_3) | instskip(SKIP_1) | instid1(SALU_CYCLE_1)
	v_cmp_le_i32_e64 s4, s27, v2
	s_or_b32 s15, s4, s15
	s_and_not1_b32 exec_lo, exec_lo, s15
	s_cbranch_execz .LBB25_20
.LBB25_15:                              ;   Parent Loop BB25_3 Depth=1
                                        ; =>  This Inner Loop Header: Depth=2
	s_mov_b32 s28, exec_lo
	v_cmpx_gt_i32_e64 s14, v2
	s_cbranch_execz .LBB25_14
; %bb.16:                               ;   in Loop: Header=BB25_15 Depth=2
	global_load_b64 v[22:23], v[12:13], off
	global_load_b64 v[24:25], v[14:15], off
	s_wait_loadcnt 0x0
	v_pk_mul_f32 v[26:27], v[24:25], v[22:23] op_sel:[1,1] op_sel_hi:[0,1]
	s_delay_alu instid0(VALU_DEP_1) | instskip(SKIP_1) | instid1(VALU_DEP_2)
	v_pk_fma_f32 v[28:29], v[24:25], v[22:23], v[26:27] op_sel_hi:[1,0,1]
	v_pk_fma_f32 v[22:23], v[24:25], v[22:23], v[26:27] neg_lo:[0,0,1] neg_hi:[0,0,1]
	v_mov_b32_e32 v23, v29
	s_delay_alu instid0(VALU_DEP_1)
	v_pk_add_f32 v[10:11], v[10:11], v[22:23]
	s_branch .LBB25_14
.LBB25_17:                              ;   in Loop: Header=BB25_3 Depth=1
	ds_load_b64 v[10:11], v16
	s_or_b32 exec_lo, exec_lo, s4
	s_and_saveexec_b32 s4, s0
	s_cbranch_execz .LBB25_11
.LBB25_18:                              ;   in Loop: Header=BB25_3 Depth=1
	s_wait_dscnt 0x0
	ds_bpermute_b32 v12, v1, v10
	ds_bpermute_b32 v13, v1, v11
	s_wait_dscnt 0x0
	v_pk_add_f32 v[10:11], v[10:11], v[12:13]
	ds_bpermute_b32 v12, v18, v10
	ds_bpermute_b32 v13, v18, v11
	s_wait_dscnt 0x0
	v_pk_add_f32 v[10:11], v[10:11], v[12:13]
	;; [unrolled: 4-line block ×4, first 2 shown]
	s_or_b32 exec_lo, exec_lo, s4
	s_and_saveexec_b32 s4, vcc_lo
	s_cbranch_execz .LBB25_2
.LBB25_19:                              ;   in Loop: Header=BB25_3 Depth=1
	s_mul_u64 s[28:29], s[22:23], s[24:25]
	s_delay_alu instid0(SALU_CYCLE_1) | instskip(NEXT) | instid1(SALU_CYCLE_1)
	s_lshl_b64 s[28:29], s[28:29], 3
	s_add_nc_u64 s[28:29], s[6:7], s[28:29]
	s_wait_dscnt 0x0
	global_store_b64 v3, v[10:11], s[28:29]
	s_branch .LBB25_2
.LBB25_20:                              ;   in Loop: Header=BB25_3 Depth=1
	s_or_b32 exec_lo, exec_lo, s15
	s_delay_alu instid0(SALU_CYCLE_1)
	s_or_b32 exec_lo, exec_lo, s5
	s_and_saveexec_b32 s4, s0
	s_cbranch_execnz .LBB25_6
	s_branch .LBB25_7
.LBB25_21:
	s_endpgm
	.section	.rodata,"a",@progbits
	.p2align	6, 0x0
	.amdhsa_kernel _ZL20rocblas_trmvt_kernelILi512ELb0ELb0ELb1EPK19rocblas_complex_numIfEPS1_S4_EviT3_lllT4_lllT5_li
		.amdhsa_group_segment_fixed_size 256
		.amdhsa_private_segment_fixed_size 0
		.amdhsa_kernarg_size 92
		.amdhsa_user_sgpr_count 2
		.amdhsa_user_sgpr_dispatch_ptr 0
		.amdhsa_user_sgpr_queue_ptr 0
		.amdhsa_user_sgpr_kernarg_segment_ptr 1
		.amdhsa_user_sgpr_dispatch_id 0
		.amdhsa_user_sgpr_kernarg_preload_length 0
		.amdhsa_user_sgpr_kernarg_preload_offset 0
		.amdhsa_user_sgpr_private_segment_size 0
		.amdhsa_wavefront_size32 1
		.amdhsa_uses_dynamic_stack 0
		.amdhsa_enable_private_segment 0
		.amdhsa_system_sgpr_workgroup_id_x 1
		.amdhsa_system_sgpr_workgroup_id_y 0
		.amdhsa_system_sgpr_workgroup_id_z 1
		.amdhsa_system_sgpr_workgroup_info 0
		.amdhsa_system_vgpr_workitem_id 0
		.amdhsa_next_free_vgpr 30
		.amdhsa_next_free_sgpr 30
		.amdhsa_named_barrier_count 0
		.amdhsa_reserve_vcc 1
		.amdhsa_float_round_mode_32 0
		.amdhsa_float_round_mode_16_64 0
		.amdhsa_float_denorm_mode_32 3
		.amdhsa_float_denorm_mode_16_64 3
		.amdhsa_fp16_overflow 0
		.amdhsa_memory_ordered 1
		.amdhsa_forward_progress 1
		.amdhsa_inst_pref_size 10
		.amdhsa_round_robin_scheduling 0
		.amdhsa_exception_fp_ieee_invalid_op 0
		.amdhsa_exception_fp_denorm_src 0
		.amdhsa_exception_fp_ieee_div_zero 0
		.amdhsa_exception_fp_ieee_overflow 0
		.amdhsa_exception_fp_ieee_underflow 0
		.amdhsa_exception_fp_ieee_inexact 0
		.amdhsa_exception_int_div_zero 0
	.end_amdhsa_kernel
	.section	.text._ZL20rocblas_trmvt_kernelILi512ELb0ELb0ELb1EPK19rocblas_complex_numIfEPS1_S4_EviT3_lllT4_lllT5_li,"axG",@progbits,_ZL20rocblas_trmvt_kernelILi512ELb0ELb0ELb1EPK19rocblas_complex_numIfEPS1_S4_EviT3_lllT4_lllT5_li,comdat
.Lfunc_end25:
	.size	_ZL20rocblas_trmvt_kernelILi512ELb0ELb0ELb1EPK19rocblas_complex_numIfEPS1_S4_EviT3_lllT4_lllT5_li, .Lfunc_end25-_ZL20rocblas_trmvt_kernelILi512ELb0ELb0ELb1EPK19rocblas_complex_numIfEPS1_S4_EviT3_lllT4_lllT5_li
                                        ; -- End function
	.set _ZL20rocblas_trmvt_kernelILi512ELb0ELb0ELb1EPK19rocblas_complex_numIfEPS1_S4_EviT3_lllT4_lllT5_li.num_vgpr, 30
	.set _ZL20rocblas_trmvt_kernelILi512ELb0ELb0ELb1EPK19rocblas_complex_numIfEPS1_S4_EviT3_lllT4_lllT5_li.num_agpr, 0
	.set _ZL20rocblas_trmvt_kernelILi512ELb0ELb0ELb1EPK19rocblas_complex_numIfEPS1_S4_EviT3_lllT4_lllT5_li.numbered_sgpr, 30
	.set _ZL20rocblas_trmvt_kernelILi512ELb0ELb0ELb1EPK19rocblas_complex_numIfEPS1_S4_EviT3_lllT4_lllT5_li.num_named_barrier, 0
	.set _ZL20rocblas_trmvt_kernelILi512ELb0ELb0ELb1EPK19rocblas_complex_numIfEPS1_S4_EviT3_lllT4_lllT5_li.private_seg_size, 0
	.set _ZL20rocblas_trmvt_kernelILi512ELb0ELb0ELb1EPK19rocblas_complex_numIfEPS1_S4_EviT3_lllT4_lllT5_li.uses_vcc, 1
	.set _ZL20rocblas_trmvt_kernelILi512ELb0ELb0ELb1EPK19rocblas_complex_numIfEPS1_S4_EviT3_lllT4_lllT5_li.uses_flat_scratch, 0
	.set _ZL20rocblas_trmvt_kernelILi512ELb0ELb0ELb1EPK19rocblas_complex_numIfEPS1_S4_EviT3_lllT4_lllT5_li.has_dyn_sized_stack, 0
	.set _ZL20rocblas_trmvt_kernelILi512ELb0ELb0ELb1EPK19rocblas_complex_numIfEPS1_S4_EviT3_lllT4_lllT5_li.has_recursion, 0
	.set _ZL20rocblas_trmvt_kernelILi512ELb0ELb0ELb1EPK19rocblas_complex_numIfEPS1_S4_EviT3_lllT4_lllT5_li.has_indirect_call, 0
	.section	.AMDGPU.csdata,"",@progbits
; Kernel info:
; codeLenInByte = 1180
; TotalNumSgprs: 32
; NumVgprs: 30
; ScratchSize: 0
; MemoryBound: 0
; FloatMode: 240
; IeeeMode: 1
; LDSByteSize: 256 bytes/workgroup (compile time only)
; SGPRBlocks: 0
; VGPRBlocks: 1
; NumSGPRsForWavesPerEU: 32
; NumVGPRsForWavesPerEU: 30
; NamedBarCnt: 0
; Occupancy: 16
; WaveLimiterHint : 0
; COMPUTE_PGM_RSRC2:SCRATCH_EN: 0
; COMPUTE_PGM_RSRC2:USER_SGPR: 2
; COMPUTE_PGM_RSRC2:TRAP_HANDLER: 0
; COMPUTE_PGM_RSRC2:TGID_X_EN: 1
; COMPUTE_PGM_RSRC2:TGID_Y_EN: 0
; COMPUTE_PGM_RSRC2:TGID_Z_EN: 1
; COMPUTE_PGM_RSRC2:TIDIG_COMP_CNT: 0
	.section	.text._ZL20rocblas_trmvt_kernelILi512ELb0ELb1ELb1EPK19rocblas_complex_numIfEPS1_S4_EviT3_lllT4_lllT5_li,"axG",@progbits,_ZL20rocblas_trmvt_kernelILi512ELb0ELb1ELb1EPK19rocblas_complex_numIfEPS1_S4_EviT3_lllT4_lllT5_li,comdat
	.globl	_ZL20rocblas_trmvt_kernelILi512ELb0ELb1ELb1EPK19rocblas_complex_numIfEPS1_S4_EviT3_lllT4_lllT5_li ; -- Begin function _ZL20rocblas_trmvt_kernelILi512ELb0ELb1ELb1EPK19rocblas_complex_numIfEPS1_S4_EviT3_lllT4_lllT5_li
	.p2align	8
	.type	_ZL20rocblas_trmvt_kernelILi512ELb0ELb1ELb1EPK19rocblas_complex_numIfEPS1_S4_EviT3_lllT4_lllT5_li,@function
_ZL20rocblas_trmvt_kernelILi512ELb0ELb1ELb1EPK19rocblas_complex_numIfEPS1_S4_EviT3_lllT4_lllT5_li: ; @_ZL20rocblas_trmvt_kernelILi512ELb0ELb1ELb1EPK19rocblas_complex_numIfEPS1_S4_EviT3_lllT4_lllT5_li
; %bb.0:
	s_load_b32 s26, s[0:1], 0x58
	s_bfe_u32 s2, ttmp6, 0x40014
	s_lshr_b32 s3, ttmp7, 16
	s_add_co_i32 s2, s2, 1
	s_bfe_u32 s5, ttmp6, 0x40008
	s_mul_i32 s4, s3, s2
	s_getreg_b32 s2, hwreg(HW_REG_IB_STS2, 6, 4)
	s_add_co_i32 s5, s5, s4
	s_cmp_eq_u32 s2, 0
	s_mov_b32 s25, 0
	s_cselect_b32 s24, s3, s5
	s_wait_kmcnt 0x0
	s_cmp_ge_u32 s24, s26
	s_cbranch_scc1 .LBB26_21
; %bb.1:
	s_clause 0x2
	s_load_b512 s[4:19], s[0:1], 0x8
	s_load_b32 s27, s[0:1], 0x0
	s_load_b128 s[20:23], s[0:1], 0x48
	v_mbcnt_lo_u32_b32 v4, -1, 0
	s_wait_xcnt 0x0
	s_bfe_u32 s1, ttmp6, 0x4000c
	v_dual_mov_b32 v3, 0 :: v_dual_bitop2_b32 v6, 31, v0 bitop3:0x40
	s_add_co_i32 s1, s1, 1
	s_and_b32 s3, ttmp6, 15
	s_mul_i32 s28, ttmp9, s1
	v_cmp_gt_u32_e64 s1, 24, v4
	v_dual_mov_b32 v1, v3 :: v_dual_lshlrev_b32 v16, 3, v6
	s_add_co_i32 s3, s3, s28
	v_cmp_gt_u32_e64 s0, 32, v0
	v_cndmask_b32_e64 v2, 0, 8, s1
	v_cmp_gt_u32_e64 s1, 28, v4
	v_cmp_eq_u32_e32 vcc_lo, 0, v0
	s_delay_alu instid0(VALU_DEP_3)
	v_add_lshl_u32 v17, v2, v4, 2
	s_wait_kmcnt 0x0
	v_mul_u64_e32 v[8:9], s[16:17], v[0:1]
	s_lshl_b64 s[28:29], s[14:15], 3
	v_cndmask_b32_e64 v5, 0, 4, s1
	s_cmp_eq_u32 s2, 0
	v_cmp_gt_u32_e64 s2, 30, v4
	v_cmp_gt_i32_e64 s1, s27, v0
	s_cselect_b32 s14, ttmp9, s3
	v_add_lshl_u32 v18, v5, v4, 2
	s_ashr_i32 s15, s14, 31
	v_cndmask_b32_e64 v5, 0, 2, s2
	v_cmp_ne_u32_e64 s2, 31, v4
	s_mul_u64 s[8:9], s[8:9], s[14:15]
	s_lshl_b64 s[6:7], s[6:7], 3
	v_lshl_or_b32 v1, v4, 2, 64
	v_add_lshl_u32 v19, v5, v4, 2
	v_add_co_ci_u32_e64 v10, null, 0, v4, s2
	v_cndmask_b32_e64 v7, 0, v0, s1
	s_lshl_b64 s[2:3], s[8:9], 3
	s_add_nc_u64 s[12:13], s[12:13], s[28:29]
	s_add_nc_u64 s[2:3], s[2:3], s[6:7]
	s_mul_u64 s[28:29], s[16:17], s[14:15]
	v_dual_lshlrev_b32 v2, 3, v7 :: v_dual_lshrrev_b32 v7, 2, v0
	s_add_nc_u64 s[2:3], s[4:5], s[2:3]
	s_lshl_b64 s[4:5], s[14:15], 3
	s_lshl_b64 s[8:9], s[10:11], 3
	s_delay_alu instid0(VALU_DEP_1)
	v_add_nc_u64_e32 v[4:5], s[2:3], v[2:3]
	v_cmp_eq_u32_e64 s2, 0, v6
	v_and_b32_e32 v20, 0x78, v7
	v_mov_b64_e32 v[6:7], 0
	v_lshlrev_b32_e32 v2, 2, v10
	v_cmp_gt_u32_e64 s3, 16, v0
	v_lshl_add_u64 v[8:9], v[8:9], 3, s[12:13]
	v_add_nc_u64_e32 v[4:5], 4, v[4:5]
	s_add_nc_u64 s[6:7], s[20:21], s[4:5]
	s_lshl_b64 s[10:11], s[18:19], 3
	s_lshl_b64 s[16:17], s[16:17], 12
	;; [unrolled: 1-line block ×3, first 2 shown]
	s_branch .LBB26_3
.LBB26_2:                               ;   in Loop: Header=BB26_3 Depth=1
	s_wait_xcnt 0x0
	s_or_b32 exec_lo, exec_lo, s4
	s_add_co_i32 s24, s24, 0x10000
	s_delay_alu instid0(SALU_CYCLE_1)
	s_cmp_lt_u32 s24, s26
	s_cbranch_scc0 .LBB26_21
.LBB26_3:                               ; =>This Loop Header: Depth=1
                                        ;     Child Loop BB26_15 Depth 2
	s_wait_dscnt 0x0
	v_mov_b64_e32 v[10:11], 0
	s_and_saveexec_b32 s4, vcc_lo
	s_cbranch_execnz .LBB26_12
; %bb.4:                                ;   in Loop: Header=BB26_3 Depth=1
	s_or_b32 exec_lo, exec_lo, s4
	s_and_saveexec_b32 s5, s1
	s_cbranch_execnz .LBB26_13
.LBB26_5:                               ;   in Loop: Header=BB26_3 Depth=1
	s_or_b32 exec_lo, exec_lo, s5
	s_and_saveexec_b32 s4, s0
.LBB26_6:                               ;   in Loop: Header=BB26_3 Depth=1
	ds_store_b64 v16, v[6:7]
.LBB26_7:                               ;   in Loop: Header=BB26_3 Depth=1
	s_or_b32 exec_lo, exec_lo, s4
	ds_bpermute_b32 v12, v1, v10
	ds_bpermute_b32 v13, v1, v11
	s_wait_dscnt 0x0
	s_barrier_signal -1
	s_barrier_wait -1
	v_pk_add_f32 v[10:11], v[10:11], v[12:13]
	ds_bpermute_b32 v12, v17, v10
	ds_bpermute_b32 v13, v17, v11
	s_wait_dscnt 0x0
	v_pk_add_f32 v[10:11], v[10:11], v[12:13]
	ds_bpermute_b32 v12, v18, v10
	ds_bpermute_b32 v13, v18, v11
	s_wait_dscnt 0x0
	;; [unrolled: 4-line block ×3, first 2 shown]
	v_pk_add_f32 v[10:11], v[10:11], v[12:13]
	ds_bpermute_b32 v12, v2, v10
	ds_bpermute_b32 v13, v2, v11
	s_and_saveexec_b32 s4, s2
	s_cbranch_execz .LBB26_9
; %bb.8:                                ;   in Loop: Header=BB26_3 Depth=1
	s_wait_dscnt 0x0
	v_pk_add_f32 v[10:11], v[10:11], v[12:13]
	ds_store_b64 v20, v[10:11]
.LBB26_9:                               ;   in Loop: Header=BB26_3 Depth=1
	s_or_b32 exec_lo, exec_lo, s4
	v_mov_b64_e32 v[10:11], 0
	s_wait_dscnt 0x0
	s_barrier_signal -1
	s_barrier_wait -1
	s_and_saveexec_b32 s4, s3
	s_cbranch_execnz .LBB26_17
; %bb.10:                               ;   in Loop: Header=BB26_3 Depth=1
	s_or_b32 exec_lo, exec_lo, s4
	s_and_saveexec_b32 s4, s0
	s_cbranch_execnz .LBB26_18
.LBB26_11:                              ;   in Loop: Header=BB26_3 Depth=1
	s_or_b32 exec_lo, exec_lo, s4
	s_and_saveexec_b32 s4, vcc_lo
	s_cbranch_execz .LBB26_2
	s_branch .LBB26_19
.LBB26_12:                              ;   in Loop: Header=BB26_3 Depth=1
	s_mul_u64 s[28:29], s[18:19], s[24:25]
	s_delay_alu instid0(SALU_CYCLE_1) | instskip(NEXT) | instid1(SALU_CYCLE_1)
	s_lshl_b64 s[28:29], s[28:29], 3
	s_add_nc_u64 s[28:29], s[12:13], s[28:29]
	s_delay_alu instid0(SALU_CYCLE_1)
	s_add_nc_u64 s[28:29], s[28:29], s[20:21]
	global_load_b64 v[10:11], v3, s[28:29]
	s_wait_loadcnt 0x0
	v_pk_add_f32 v[10:11], v[10:11], 0 op_sel_hi:[1,0]
	s_wait_xcnt 0x0
	s_or_b32 exec_lo, exec_lo, s4
	s_and_saveexec_b32 s5, s1
	s_cbranch_execz .LBB26_5
.LBB26_13:                              ;   in Loop: Header=BB26_3 Depth=1
	v_mad_nc_u64_u32 v[12:13], s8, s24, v[4:5]
	v_mad_nc_u64_u32 v[14:15], s10, s24, v[8:9]
	v_mov_b32_e32 v21, v0
	s_mov_b32 s15, 0
	s_delay_alu instid0(VALU_DEP_3) | instskip(NEXT) | instid1(VALU_DEP_3)
	v_mad_u32 v13, s9, s24, v13
	v_mad_u32 v15, s11, s24, v15
	s_branch .LBB26_15
.LBB26_14:                              ;   in Loop: Header=BB26_15 Depth=2
	s_wait_xcnt 0x0
	s_or_b32 exec_lo, exec_lo, s28
	v_add_nc_u32_e32 v21, 0x200, v21
	s_delay_alu instid0(VALU_DEP_4) | instskip(NEXT) | instid1(VALU_DEP_4)
	v_add_nc_u64_e32 v[12:13], 0x1000, v[12:13]
	v_add_nc_u64_e32 v[14:15], s[16:17], v[14:15]
	s_delay_alu instid0(VALU_DEP_3) | instskip(SKIP_1) | instid1(SALU_CYCLE_1)
	v_cmp_le_i32_e64 s4, s27, v21
	s_or_b32 s15, s4, s15
	s_and_not1_b32 exec_lo, exec_lo, s15
	s_cbranch_execz .LBB26_20
.LBB26_15:                              ;   Parent Loop BB26_3 Depth=1
                                        ; =>  This Inner Loop Header: Depth=2
	s_mov_b32 s28, exec_lo
	v_cmpx_gt_i32_e64 s14, v21
	s_cbranch_execz .LBB26_14
; %bb.16:                               ;   in Loop: Header=BB26_15 Depth=2
	global_load_b64 v[22:23], v[12:13], off offset:-4
	global_load_b64 v[24:25], v[14:15], off
	s_wait_loadcnt 0x0
	v_pk_mul_f32 v[26:27], v[22:23], v[24:25] op_sel:[1,1] op_sel_hi:[1,0]
	s_delay_alu instid0(VALU_DEP_1) | instskip(SKIP_1) | instid1(VALU_DEP_2)
	v_pk_fma_f32 v[28:29], v[22:23], v[24:25], v[26:27] op_sel_hi:[0,1,1] neg_lo:[0,0,1] neg_hi:[0,0,1]
	v_pk_fma_f32 v[22:23], v[22:23], v[24:25], v[26:27]
	v_mov_b32_e32 v23, v29
	s_delay_alu instid0(VALU_DEP_1)
	v_pk_add_f32 v[10:11], v[10:11], v[22:23]
	s_branch .LBB26_14
.LBB26_17:                              ;   in Loop: Header=BB26_3 Depth=1
	ds_load_b64 v[10:11], v16
	s_or_b32 exec_lo, exec_lo, s4
	s_and_saveexec_b32 s4, s0
	s_cbranch_execz .LBB26_11
.LBB26_18:                              ;   in Loop: Header=BB26_3 Depth=1
	s_wait_dscnt 0x0
	ds_bpermute_b32 v12, v17, v10
	ds_bpermute_b32 v13, v17, v11
	s_wait_dscnt 0x0
	v_pk_add_f32 v[10:11], v[10:11], v[12:13]
	ds_bpermute_b32 v12, v18, v10
	ds_bpermute_b32 v13, v18, v11
	s_wait_dscnt 0x0
	v_pk_add_f32 v[10:11], v[10:11], v[12:13]
	;; [unrolled: 4-line block ×4, first 2 shown]
	s_or_b32 exec_lo, exec_lo, s4
	s_and_saveexec_b32 s4, vcc_lo
	s_cbranch_execz .LBB26_2
.LBB26_19:                              ;   in Loop: Header=BB26_3 Depth=1
	s_mul_u64 s[28:29], s[22:23], s[24:25]
	s_delay_alu instid0(SALU_CYCLE_1) | instskip(NEXT) | instid1(SALU_CYCLE_1)
	s_lshl_b64 s[28:29], s[28:29], 3
	s_add_nc_u64 s[28:29], s[6:7], s[28:29]
	s_wait_dscnt 0x0
	global_store_b64 v3, v[10:11], s[28:29]
	s_branch .LBB26_2
.LBB26_20:                              ;   in Loop: Header=BB26_3 Depth=1
	s_or_b32 exec_lo, exec_lo, s15
	s_delay_alu instid0(SALU_CYCLE_1)
	s_or_b32 exec_lo, exec_lo, s5
	s_and_saveexec_b32 s4, s0
	s_cbranch_execnz .LBB26_6
	s_branch .LBB26_7
.LBB26_21:
	s_endpgm
	.section	.rodata,"a",@progbits
	.p2align	6, 0x0
	.amdhsa_kernel _ZL20rocblas_trmvt_kernelILi512ELb0ELb1ELb1EPK19rocblas_complex_numIfEPS1_S4_EviT3_lllT4_lllT5_li
		.amdhsa_group_segment_fixed_size 256
		.amdhsa_private_segment_fixed_size 0
		.amdhsa_kernarg_size 92
		.amdhsa_user_sgpr_count 2
		.amdhsa_user_sgpr_dispatch_ptr 0
		.amdhsa_user_sgpr_queue_ptr 0
		.amdhsa_user_sgpr_kernarg_segment_ptr 1
		.amdhsa_user_sgpr_dispatch_id 0
		.amdhsa_user_sgpr_kernarg_preload_length 0
		.amdhsa_user_sgpr_kernarg_preload_offset 0
		.amdhsa_user_sgpr_private_segment_size 0
		.amdhsa_wavefront_size32 1
		.amdhsa_uses_dynamic_stack 0
		.amdhsa_enable_private_segment 0
		.amdhsa_system_sgpr_workgroup_id_x 1
		.amdhsa_system_sgpr_workgroup_id_y 0
		.amdhsa_system_sgpr_workgroup_id_z 1
		.amdhsa_system_sgpr_workgroup_info 0
		.amdhsa_system_vgpr_workitem_id 0
		.amdhsa_next_free_vgpr 30
		.amdhsa_next_free_sgpr 30
		.amdhsa_named_barrier_count 0
		.amdhsa_reserve_vcc 1
		.amdhsa_float_round_mode_32 0
		.amdhsa_float_round_mode_16_64 0
		.amdhsa_float_denorm_mode_32 3
		.amdhsa_float_denorm_mode_16_64 3
		.amdhsa_fp16_overflow 0
		.amdhsa_memory_ordered 1
		.amdhsa_forward_progress 1
		.amdhsa_inst_pref_size 10
		.amdhsa_round_robin_scheduling 0
		.amdhsa_exception_fp_ieee_invalid_op 0
		.amdhsa_exception_fp_denorm_src 0
		.amdhsa_exception_fp_ieee_div_zero 0
		.amdhsa_exception_fp_ieee_overflow 0
		.amdhsa_exception_fp_ieee_underflow 0
		.amdhsa_exception_fp_ieee_inexact 0
		.amdhsa_exception_int_div_zero 0
	.end_amdhsa_kernel
	.section	.text._ZL20rocblas_trmvt_kernelILi512ELb0ELb1ELb1EPK19rocblas_complex_numIfEPS1_S4_EviT3_lllT4_lllT5_li,"axG",@progbits,_ZL20rocblas_trmvt_kernelILi512ELb0ELb1ELb1EPK19rocblas_complex_numIfEPS1_S4_EviT3_lllT4_lllT5_li,comdat
.Lfunc_end26:
	.size	_ZL20rocblas_trmvt_kernelILi512ELb0ELb1ELb1EPK19rocblas_complex_numIfEPS1_S4_EviT3_lllT4_lllT5_li, .Lfunc_end26-_ZL20rocblas_trmvt_kernelILi512ELb0ELb1ELb1EPK19rocblas_complex_numIfEPS1_S4_EviT3_lllT4_lllT5_li
                                        ; -- End function
	.set _ZL20rocblas_trmvt_kernelILi512ELb0ELb1ELb1EPK19rocblas_complex_numIfEPS1_S4_EviT3_lllT4_lllT5_li.num_vgpr, 30
	.set _ZL20rocblas_trmvt_kernelILi512ELb0ELb1ELb1EPK19rocblas_complex_numIfEPS1_S4_EviT3_lllT4_lllT5_li.num_agpr, 0
	.set _ZL20rocblas_trmvt_kernelILi512ELb0ELb1ELb1EPK19rocblas_complex_numIfEPS1_S4_EviT3_lllT4_lllT5_li.numbered_sgpr, 30
	.set _ZL20rocblas_trmvt_kernelILi512ELb0ELb1ELb1EPK19rocblas_complex_numIfEPS1_S4_EviT3_lllT4_lllT5_li.num_named_barrier, 0
	.set _ZL20rocblas_trmvt_kernelILi512ELb0ELb1ELb1EPK19rocblas_complex_numIfEPS1_S4_EviT3_lllT4_lllT5_li.private_seg_size, 0
	.set _ZL20rocblas_trmvt_kernelILi512ELb0ELb1ELb1EPK19rocblas_complex_numIfEPS1_S4_EviT3_lllT4_lllT5_li.uses_vcc, 1
	.set _ZL20rocblas_trmvt_kernelILi512ELb0ELb1ELb1EPK19rocblas_complex_numIfEPS1_S4_EviT3_lllT4_lllT5_li.uses_flat_scratch, 0
	.set _ZL20rocblas_trmvt_kernelILi512ELb0ELb1ELb1EPK19rocblas_complex_numIfEPS1_S4_EviT3_lllT4_lllT5_li.has_dyn_sized_stack, 0
	.set _ZL20rocblas_trmvt_kernelILi512ELb0ELb1ELb1EPK19rocblas_complex_numIfEPS1_S4_EviT3_lllT4_lllT5_li.has_recursion, 0
	.set _ZL20rocblas_trmvt_kernelILi512ELb0ELb1ELb1EPK19rocblas_complex_numIfEPS1_S4_EviT3_lllT4_lllT5_li.has_indirect_call, 0
	.section	.AMDGPU.csdata,"",@progbits
; Kernel info:
; codeLenInByte = 1192
; TotalNumSgprs: 32
; NumVgprs: 30
; ScratchSize: 0
; MemoryBound: 0
; FloatMode: 240
; IeeeMode: 1
; LDSByteSize: 256 bytes/workgroup (compile time only)
; SGPRBlocks: 0
; VGPRBlocks: 1
; NumSGPRsForWavesPerEU: 32
; NumVGPRsForWavesPerEU: 30
; NamedBarCnt: 0
; Occupancy: 16
; WaveLimiterHint : 0
; COMPUTE_PGM_RSRC2:SCRATCH_EN: 0
; COMPUTE_PGM_RSRC2:USER_SGPR: 2
; COMPUTE_PGM_RSRC2:TRAP_HANDLER: 0
; COMPUTE_PGM_RSRC2:TGID_X_EN: 1
; COMPUTE_PGM_RSRC2:TGID_Y_EN: 0
; COMPUTE_PGM_RSRC2:TGID_Z_EN: 1
; COMPUTE_PGM_RSRC2:TIDIG_COMP_CNT: 0
	.section	.text._ZL20rocblas_trmvn_kernelILi64ELi16ELb0ELb0EPK19rocblas_complex_numIfEPS1_S4_EviT3_lllT4_lllT5_li,"axG",@progbits,_ZL20rocblas_trmvn_kernelILi64ELi16ELb0ELb0EPK19rocblas_complex_numIfEPS1_S4_EviT3_lllT4_lllT5_li,comdat
	.globl	_ZL20rocblas_trmvn_kernelILi64ELi16ELb0ELb0EPK19rocblas_complex_numIfEPS1_S4_EviT3_lllT4_lllT5_li ; -- Begin function _ZL20rocblas_trmvn_kernelILi64ELi16ELb0ELb0EPK19rocblas_complex_numIfEPS1_S4_EviT3_lllT4_lllT5_li
	.p2align	8
	.type	_ZL20rocblas_trmvn_kernelILi64ELi16ELb0ELb0EPK19rocblas_complex_numIfEPS1_S4_EviT3_lllT4_lllT5_li,@function
_ZL20rocblas_trmvn_kernelILi64ELi16ELb0ELb0EPK19rocblas_complex_numIfEPS1_S4_EviT3_lllT4_lllT5_li: ; @_ZL20rocblas_trmvn_kernelILi64ELi16ELb0ELb0EPK19rocblas_complex_numIfEPS1_S4_EviT3_lllT4_lllT5_li
; %bb.0:
	s_load_b32 s3, s[0:1], 0x58
	s_bfe_u32 s2, ttmp6, 0x40014
	s_lshr_b32 s4, ttmp7, 16
	s_add_co_i32 s2, s2, 1
	s_bfe_u32 s6, ttmp6, 0x40008
	s_mul_i32 s5, s4, s2
	s_getreg_b32 s2, hwreg(HW_REG_IB_STS2, 6, 4)
	s_add_co_i32 s6, s6, s5
	s_cmp_eq_u32 s2, 0
	s_mov_b32 s25, 0
	s_cselect_b32 s24, s4, s6
	s_wait_kmcnt 0x0
	s_cmp_ge_u32 s24, s3
	s_cbranch_scc1 .LBB27_14
; %bb.1:
	s_clause 0x1
	s_load_b512 s[4:19], s[0:1], 0x8
	s_load_b32 s20, s[0:1], 0x6c
	s_bfe_u32 s21, ttmp6, 0x4000c
	s_and_b32 s22, ttmp6, 15
	s_add_co_i32 s21, s21, 1
	v_and_b32_e32 v14, 0x3ff, v0
	s_mul_i32 s21, ttmp9, s21
	v_bfe_u32 v2, v0, 10, 10
	s_add_co_i32 s22, s22, s21
	s_load_b32 s26, s[0:1], 0x0
	v_lshlrev_b32_e32 v16, 3, v14
	s_wait_kmcnt 0x0
	s_lshl_b64 s[28:29], s[6:7], 3
	s_lshl_b64 s[14:15], s[14:15], 3
	s_and_b32 s27, s20, 0xffff
	s_cmp_eq_u32 s2, 0
	v_mad_u32_u24 v17, v2, s27, v14
	s_cselect_b32 s2, ttmp9, s22
	s_load_b128 s[20:23], s[0:1], 0x48
	v_lshl_add_u32 v0, s2, 6, v14
	v_mov_b32_e32 v3, 0
	s_wait_xcnt 0x0
	v_cmp_eq_u32_e64 s0, 0, v2
	s_add_nc_u64 s[12:13], s[12:13], s[14:15]
	v_cmp_gt_u32_e64 s1, 64, v17
	v_ashrrev_i32_e32 v1, 31, v0
	v_mul_u64_e32 v[8:9], s[8:9], v[2:3]
	v_mul_u64_e32 v[10:11], s[16:17], v[2:3]
	v_cmp_gt_i32_e32 vcc_lo, s26, v0
	s_add_nc_u64 s[6:7], s[4:5], s[28:29]
	v_mad_nc_u64_u32 v[4:5], v0, s8, v[0:1]
	v_mul_u64_e32 v[6:7], s[16:17], v[0:1]
	v_lshlrev_b64_e32 v[12:13], 3, v[0:1]
	s_lshl_b64 s[14:15], s[16:17], 7
	s_lshl_b64 s[16:17], s[10:11], 3
	s_delay_alu instid0(VALU_DEP_3) | instskip(SKIP_3) | instid1(VALU_DEP_2)
	v_mad_u32 v3, v1, s8, v5
	v_mul_u32_u24_e32 v1, s27, v2
	s_and_b32 s27, s0, vcc_lo
	v_cmp_gt_i32_e64 s0, s26, v2
	v_lshl_add_u32 v1, v1, 3, v16
	s_delay_alu instid0(VALU_DEP_4) | instskip(SKIP_4) | instid1(VALU_DEP_3)
	v_mad_u32 v5, v0, s9, v3
	v_lshlrev_b32_e32 v3, 9, v2
	s_lshl_b64 s[8:9], s[8:9], 7
	v_lshl_add_u64 v[8:9], v[8:9], 3, s[28:29]
	v_lshl_add_u64 v[10:11], v[10:11], 3, s[12:13]
	v_add_nc_u32_e32 v3, v16, v3
	s_delay_alu instid0(VALU_DEP_3) | instskip(SKIP_2) | instid1(VALU_DEP_2)
	v_add_nc_u64_e32 v[14:15], v[8:9], v[12:13]
	s_wait_kmcnt 0x0
	v_add_nc_u64_e32 v[8:9], s[20:21], v[12:13]
	v_add_nc_u64_e32 v[12:13], s[4:5], v[14:15]
	s_lshl_b64 s[4:5], s[18:19], 3
	s_branch .LBB27_3
.LBB27_2:                               ;   in Loop: Header=BB27_3 Depth=1
	s_wait_xcnt 0x0
	s_or_b32 exec_lo, exec_lo, s2
	s_add_co_i32 s24, s24, 0x10000
	s_delay_alu instid0(SALU_CYCLE_1)
	s_cmp_lt_u32 s24, s3
	s_cbranch_scc0 .LBB27_14
.LBB27_3:                               ; =>This Loop Header: Depth=1
                                        ;     Child Loop BB27_8 Depth 2
	v_mov_b64_e32 v[14:15], 0
	s_and_saveexec_b32 s2, s27
	s_cbranch_execz .LBB27_5
; %bb.4:                                ;   in Loop: Header=BB27_3 Depth=1
	s_mul_u64 s[20:21], s[10:11], s[24:25]
	s_mul_u64 s[28:29], s[18:19], s[24:25]
	s_lshl_b64 s[20:21], s[20:21], 3
	s_lshl_b64 s[28:29], s[28:29], 3
	s_add_nc_u64 s[20:21], s[6:7], s[20:21]
	s_add_nc_u64 s[28:29], s[12:13], s[28:29]
	v_lshl_add_u64 v[14:15], v[4:5], 3, s[20:21]
	v_lshl_add_u64 v[16:17], v[6:7], 3, s[28:29]
	global_load_b64 v[18:19], v[14:15], off
	global_load_b64 v[20:21], v[16:17], off
	s_wait_loadcnt 0x0
	s_wait_xcnt 0x1
	v_pk_mul_f32 v[14:15], v[20:21], v[18:19] op_sel:[1,1] op_sel_hi:[0,1]
	s_wait_xcnt 0x0
	s_delay_alu instid0(VALU_DEP_1) | instskip(SKIP_1) | instid1(VALU_DEP_2)
	v_pk_fma_f32 v[16:17], v[20:21], v[18:19], v[14:15] op_sel_hi:[1,0,1]
	v_pk_fma_f32 v[14:15], v[20:21], v[18:19], v[14:15] neg_lo:[0,0,1] neg_hi:[0,0,1]
	v_mov_b32_e32 v15, v17
.LBB27_5:                               ;   in Loop: Header=BB27_3 Depth=1
	s_or_b32 exec_lo, exec_lo, s2
	s_and_saveexec_b32 s20, s0
	s_cbranch_execz .LBB27_11
; %bb.6:                                ;   in Loop: Header=BB27_3 Depth=1
	v_mad_nc_u64_u32 v[16:17], s4, s24, v[10:11]
	v_mad_nc_u64_u32 v[18:19], s16, s24, v[12:13]
	v_mov_b32_e32 v20, v2
	s_mov_b32 s21, 0
	s_delay_alu instid0(VALU_DEP_3) | instskip(NEXT) | instid1(VALU_DEP_3)
	v_mad_u32 v17, s5, s24, v17
	v_mad_u32 v19, s17, s24, v19
	s_branch .LBB27_8
.LBB27_7:                               ;   in Loop: Header=BB27_8 Depth=2
	s_wait_xcnt 0x0
	s_or_b32 exec_lo, exec_lo, s28
	v_add_nc_u32_e32 v20, 16, v20
	s_delay_alu instid0(VALU_DEP_4) | instskip(NEXT) | instid1(VALU_DEP_4)
	v_add_nc_u64_e32 v[16:17], s[14:15], v[16:17]
	v_add_nc_u64_e32 v[18:19], s[8:9], v[18:19]
	s_delay_alu instid0(VALU_DEP_3) | instskip(SKIP_1) | instid1(SALU_CYCLE_1)
	v_cmp_le_i32_e64 s2, s26, v20
	s_or_b32 s21, s2, s21
	s_and_not1_b32 exec_lo, exec_lo, s21
	s_cbranch_execz .LBB27_10
.LBB27_8:                               ;   Parent Loop BB27_3 Depth=1
                                        ; =>  This Inner Loop Header: Depth=2
	s_mov_b32 s28, exec_lo
	v_cmpx_gt_i32_e64 v20, v0
	s_cbranch_execz .LBB27_7
; %bb.9:                                ;   in Loop: Header=BB27_8 Depth=2
	global_load_b64 v[22:23], v[18:19], off
	global_load_b64 v[24:25], v[16:17], off
	s_wait_loadcnt 0x0
	v_pk_mul_f32 v[26:27], v[24:25], v[22:23] op_sel:[1,1] op_sel_hi:[0,1]
	s_delay_alu instid0(VALU_DEP_1) | instskip(SKIP_1) | instid1(VALU_DEP_2)
	v_pk_fma_f32 v[28:29], v[24:25], v[22:23], v[26:27] op_sel_hi:[1,0,1]
	v_pk_fma_f32 v[22:23], v[24:25], v[22:23], v[26:27] neg_lo:[0,0,1] neg_hi:[0,0,1]
	v_mov_b32_e32 v23, v29
	s_delay_alu instid0(VALU_DEP_1)
	v_pk_add_f32 v[14:15], v[14:15], v[22:23]
	s_branch .LBB27_7
.LBB27_10:                              ;   in Loop: Header=BB27_3 Depth=1
	s_or_b32 exec_lo, exec_lo, s21
.LBB27_11:                              ;   in Loop: Header=BB27_3 Depth=1
	s_delay_alu instid0(SALU_CYCLE_1)
	s_or_b32 exec_lo, exec_lo, s20
	ds_store_b64 v3, v[14:15]
	s_wait_dscnt 0x0
	s_barrier_signal -1
	s_barrier_wait -1
	s_and_saveexec_b32 s2, s1
	s_cbranch_execz .LBB27_2
; %bb.12:                               ;   in Loop: Header=BB27_3 Depth=1
	ds_load_2addr_stride64_b64 v[14:17], v1 offset1:1
	ds_load_2addr_stride64_b64 v[18:21], v1 offset0:2 offset1:3
	ds_load_2addr_stride64_b64 v[22:25], v1 offset0:4 offset1:5
	s_wait_dscnt 0x2
	v_pk_add_f32 v[26:27], v[14:15], v[16:17]
	ds_load_2addr_stride64_b64 v[14:17], v1 offset0:6 offset1:7
	s_wait_dscnt 0x2
	v_pk_add_f32 v[18:19], v[26:27], v[18:19]
	s_delay_alu instid0(VALU_DEP_1) | instskip(SKIP_3) | instid1(VALU_DEP_1)
	v_pk_add_f32 v[26:27], v[18:19], v[20:21]
	ds_load_2addr_stride64_b64 v[18:21], v1 offset0:8 offset1:9
	s_wait_dscnt 0x2
	v_pk_add_f32 v[22:23], v[26:27], v[22:23]
	v_pk_add_f32 v[26:27], v[22:23], v[24:25]
	ds_load_2addr_stride64_b64 v[22:25], v1 offset0:10 offset1:11
	s_wait_dscnt 0x2
	v_pk_add_f32 v[14:15], v[26:27], v[14:15]
	s_delay_alu instid0(VALU_DEP_1) | instskip(SKIP_1) | instid1(VALU_DEP_1)
	v_pk_add_f32 v[14:15], v[14:15], v[16:17]
	s_wait_dscnt 0x1
	v_pk_add_f32 v[18:19], v[14:15], v[18:19]
	ds_load_2addr_stride64_b64 v[14:17], v1 offset0:12 offset1:13
	v_pk_add_f32 v[18:19], v[18:19], v[20:21]
	s_wait_dscnt 0x1
	s_delay_alu instid0(VALU_DEP_1) | instskip(SKIP_3) | instid1(VALU_DEP_1)
	v_pk_add_f32 v[22:23], v[18:19], v[22:23]
	ds_load_2addr_stride64_b64 v[18:21], v1 offset0:14 offset1:15
	v_pk_add_f32 v[22:23], v[22:23], v[24:25]
	s_wait_dscnt 0x1
	v_pk_add_f32 v[14:15], v[22:23], v[14:15]
	s_delay_alu instid0(VALU_DEP_1) | instskip(SKIP_1) | instid1(VALU_DEP_1)
	v_pk_add_f32 v[14:15], v[14:15], v[16:17]
	s_wait_dscnt 0x0
	v_pk_add_f32 v[14:15], v[14:15], v[18:19]
	s_delay_alu instid0(VALU_DEP_1)
	v_pk_add_f32 v[14:15], v[14:15], v[20:21]
	ds_store_b64 v1, v[14:15]
	s_and_b32 exec_lo, exec_lo, vcc_lo
	s_cbranch_execz .LBB27_2
; %bb.13:                               ;   in Loop: Header=BB27_3 Depth=1
	s_mul_u64 s[20:21], s[22:23], s[24:25]
	s_delay_alu instid0(SALU_CYCLE_1)
	v_lshl_add_u64 v[16:17], s[20:21], 3, v[8:9]
	global_store_b64 v[16:17], v[14:15], off
	s_branch .LBB27_2
.LBB27_14:
	s_endpgm
	.section	.rodata,"a",@progbits
	.p2align	6, 0x0
	.amdhsa_kernel _ZL20rocblas_trmvn_kernelILi64ELi16ELb0ELb0EPK19rocblas_complex_numIfEPS1_S4_EviT3_lllT4_lllT5_li
		.amdhsa_group_segment_fixed_size 8192
		.amdhsa_private_segment_fixed_size 0
		.amdhsa_kernarg_size 352
		.amdhsa_user_sgpr_count 2
		.amdhsa_user_sgpr_dispatch_ptr 0
		.amdhsa_user_sgpr_queue_ptr 0
		.amdhsa_user_sgpr_kernarg_segment_ptr 1
		.amdhsa_user_sgpr_dispatch_id 0
		.amdhsa_user_sgpr_kernarg_preload_length 0
		.amdhsa_user_sgpr_kernarg_preload_offset 0
		.amdhsa_user_sgpr_private_segment_size 0
		.amdhsa_wavefront_size32 1
		.amdhsa_uses_dynamic_stack 0
		.amdhsa_enable_private_segment 0
		.amdhsa_system_sgpr_workgroup_id_x 1
		.amdhsa_system_sgpr_workgroup_id_y 0
		.amdhsa_system_sgpr_workgroup_id_z 1
		.amdhsa_system_sgpr_workgroup_info 0
		.amdhsa_system_vgpr_workitem_id 1
		.amdhsa_next_free_vgpr 30
		.amdhsa_next_free_sgpr 30
		.amdhsa_named_barrier_count 0
		.amdhsa_reserve_vcc 1
		.amdhsa_float_round_mode_32 0
		.amdhsa_float_round_mode_16_64 0
		.amdhsa_float_denorm_mode_32 3
		.amdhsa_float_denorm_mode_16_64 3
		.amdhsa_fp16_overflow 0
		.amdhsa_memory_ordered 1
		.amdhsa_forward_progress 1
		.amdhsa_inst_pref_size 9
		.amdhsa_round_robin_scheduling 0
		.amdhsa_exception_fp_ieee_invalid_op 0
		.amdhsa_exception_fp_denorm_src 0
		.amdhsa_exception_fp_ieee_div_zero 0
		.amdhsa_exception_fp_ieee_overflow 0
		.amdhsa_exception_fp_ieee_underflow 0
		.amdhsa_exception_fp_ieee_inexact 0
		.amdhsa_exception_int_div_zero 0
	.end_amdhsa_kernel
	.section	.text._ZL20rocblas_trmvn_kernelILi64ELi16ELb0ELb0EPK19rocblas_complex_numIfEPS1_S4_EviT3_lllT4_lllT5_li,"axG",@progbits,_ZL20rocblas_trmvn_kernelILi64ELi16ELb0ELb0EPK19rocblas_complex_numIfEPS1_S4_EviT3_lllT4_lllT5_li,comdat
.Lfunc_end27:
	.size	_ZL20rocblas_trmvn_kernelILi64ELi16ELb0ELb0EPK19rocblas_complex_numIfEPS1_S4_EviT3_lllT4_lllT5_li, .Lfunc_end27-_ZL20rocblas_trmvn_kernelILi64ELi16ELb0ELb0EPK19rocblas_complex_numIfEPS1_S4_EviT3_lllT4_lllT5_li
                                        ; -- End function
	.set _ZL20rocblas_trmvn_kernelILi64ELi16ELb0ELb0EPK19rocblas_complex_numIfEPS1_S4_EviT3_lllT4_lllT5_li.num_vgpr, 30
	.set _ZL20rocblas_trmvn_kernelILi64ELi16ELb0ELb0EPK19rocblas_complex_numIfEPS1_S4_EviT3_lllT4_lllT5_li.num_agpr, 0
	.set _ZL20rocblas_trmvn_kernelILi64ELi16ELb0ELb0EPK19rocblas_complex_numIfEPS1_S4_EviT3_lllT4_lllT5_li.numbered_sgpr, 30
	.set _ZL20rocblas_trmvn_kernelILi64ELi16ELb0ELb0EPK19rocblas_complex_numIfEPS1_S4_EviT3_lllT4_lllT5_li.num_named_barrier, 0
	.set _ZL20rocblas_trmvn_kernelILi64ELi16ELb0ELb0EPK19rocblas_complex_numIfEPS1_S4_EviT3_lllT4_lllT5_li.private_seg_size, 0
	.set _ZL20rocblas_trmvn_kernelILi64ELi16ELb0ELb0EPK19rocblas_complex_numIfEPS1_S4_EviT3_lllT4_lllT5_li.uses_vcc, 1
	.set _ZL20rocblas_trmvn_kernelILi64ELi16ELb0ELb0EPK19rocblas_complex_numIfEPS1_S4_EviT3_lllT4_lllT5_li.uses_flat_scratch, 0
	.set _ZL20rocblas_trmvn_kernelILi64ELi16ELb0ELb0EPK19rocblas_complex_numIfEPS1_S4_EviT3_lllT4_lllT5_li.has_dyn_sized_stack, 0
	.set _ZL20rocblas_trmvn_kernelILi64ELi16ELb0ELb0EPK19rocblas_complex_numIfEPS1_S4_EviT3_lllT4_lllT5_li.has_recursion, 0
	.set _ZL20rocblas_trmvn_kernelILi64ELi16ELb0ELb0EPK19rocblas_complex_numIfEPS1_S4_EviT3_lllT4_lllT5_li.has_indirect_call, 0
	.section	.AMDGPU.csdata,"",@progbits
; Kernel info:
; codeLenInByte = 1044
; TotalNumSgprs: 32
; NumVgprs: 30
; ScratchSize: 0
; MemoryBound: 0
; FloatMode: 240
; IeeeMode: 1
; LDSByteSize: 8192 bytes/workgroup (compile time only)
; SGPRBlocks: 0
; VGPRBlocks: 1
; NumSGPRsForWavesPerEU: 32
; NumVGPRsForWavesPerEU: 30
; NamedBarCnt: 0
; Occupancy: 16
; WaveLimiterHint : 0
; COMPUTE_PGM_RSRC2:SCRATCH_EN: 0
; COMPUTE_PGM_RSRC2:USER_SGPR: 2
; COMPUTE_PGM_RSRC2:TRAP_HANDLER: 0
; COMPUTE_PGM_RSRC2:TGID_X_EN: 1
; COMPUTE_PGM_RSRC2:TGID_Y_EN: 0
; COMPUTE_PGM_RSRC2:TGID_Z_EN: 1
; COMPUTE_PGM_RSRC2:TIDIG_COMP_CNT: 1
	.section	.text._ZL20rocblas_trmvt_kernelILi512ELb0ELb0ELb0EPK19rocblas_complex_numIfEPS1_S4_EviT3_lllT4_lllT5_li,"axG",@progbits,_ZL20rocblas_trmvt_kernelILi512ELb0ELb0ELb0EPK19rocblas_complex_numIfEPS1_S4_EviT3_lllT4_lllT5_li,comdat
	.globl	_ZL20rocblas_trmvt_kernelILi512ELb0ELb0ELb0EPK19rocblas_complex_numIfEPS1_S4_EviT3_lllT4_lllT5_li ; -- Begin function _ZL20rocblas_trmvt_kernelILi512ELb0ELb0ELb0EPK19rocblas_complex_numIfEPS1_S4_EviT3_lllT4_lllT5_li
	.p2align	8
	.type	_ZL20rocblas_trmvt_kernelILi512ELb0ELb0ELb0EPK19rocblas_complex_numIfEPS1_S4_EviT3_lllT4_lllT5_li,@function
_ZL20rocblas_trmvt_kernelILi512ELb0ELb0ELb0EPK19rocblas_complex_numIfEPS1_S4_EviT3_lllT4_lllT5_li: ; @_ZL20rocblas_trmvt_kernelILi512ELb0ELb0ELb0EPK19rocblas_complex_numIfEPS1_S4_EviT3_lllT4_lllT5_li
; %bb.0:
	s_load_b32 s28, s[0:1], 0x58
	s_bfe_u32 s2, ttmp6, 0x40014
	s_lshr_b32 s3, ttmp7, 16
	s_add_co_i32 s2, s2, 1
	s_bfe_u32 s5, ttmp6, 0x40008
	s_mul_i32 s4, s3, s2
	s_getreg_b32 s2, hwreg(HW_REG_IB_STS2, 6, 4)
	s_add_co_i32 s5, s5, s4
	s_cmp_eq_u32 s2, 0
	s_mov_b32 s25, 0
	s_cselect_b32 s24, s3, s5
	s_wait_kmcnt 0x0
	s_cmp_ge_u32 s24, s28
	s_cbranch_scc1 .LBB28_21
; %bb.1:
	s_clause 0x2
	s_load_b32 s29, s[0:1], 0x0
	s_load_b512 s[4:19], s[0:1], 0x8
	s_load_b128 s[20:23], s[0:1], 0x48
	v_mbcnt_lo_u32_b32 v7, -1, 0
	s_wait_xcnt 0x0
	s_bfe_u32 s0, ttmp6, 0x4000c
	v_dual_mov_b32 v3, 0 :: v_dual_bitop2_b32 v6, 31, v0 bitop3:0x40
	s_add_co_i32 s1, s0, 1
	s_and_b32 s3, ttmp6, 15
	s_mul_i32 s26, ttmp9, s1
	v_cmp_gt_u32_e64 s1, 24, v7
	v_dual_mov_b32 v1, v3 :: v_dual_lshlrev_b32 v18, 3, v6
	s_add_co_i32 s3, s3, s26
	v_lshl_or_b32 v19, v7, 2, 64
	v_cndmask_b32_e64 v8, 0, 8, s1
	v_cmp_gt_u32_e64 s0, 32, v0
	v_cmp_eq_u32_e32 vcc_lo, 0, v0
	s_wait_kmcnt 0x0
	v_cmp_gt_i32_e64 s1, s29, v0
	v_mul_u64_e32 v[10:11], s[16:17], v[0:1]
	s_lshl_b64 s[14:15], s[14:15], 3
	s_lshl_b64 s[26:27], s[6:7], 3
	s_cmp_eq_u32 s2, 0
	v_cndmask_b32_e64 v2, 0, v0, s1
	v_cmp_gt_u32_e64 s2, 28, v7
	v_add_lshl_u32 v1, v8, v7, 2
	v_lshrrev_b32_e32 v8, 2, v0
	s_cselect_b32 s6, ttmp9, s3
	v_lshlrev_b32_e32 v2, 3, v2
	v_cndmask_b32_e64 v9, 0, 4, s2
	s_add_nc_u64 s[2:3], s[4:5], s[26:27]
	s_ashr_i32 s7, s6, 31
	v_and_b32_e32 v23, 0x78, v8
	v_add_nc_u64_e32 v[4:5], s[2:3], v[2:3]
	v_cmp_gt_u32_e64 s2, 30, v7
	v_add_lshl_u32 v20, v9, v7, 2
	v_mov_b64_e32 v[8:9], 0
	s_mul_u64 s[30:31], s[16:17], s[6:7]
	s_lshl_b64 s[16:17], s[16:17], 12
	v_cndmask_b32_e64 v12, 0, 2, s2
	s_mul_u64 s[2:3], s[8:9], s[6:7]
	s_add_nc_u64 s[8:9], s[12:13], s[14:15]
	s_lshl_b64 s[12:13], s[2:3], 3
	v_cmp_ne_u32_e64 s2, 31, v7
	v_add_nc_u64_e32 v[4:5], s[12:13], v[4:5]
	s_add_nc_u64 s[12:13], s[12:13], s[26:27]
	v_add_lshl_u32 v21, v12, v7, 2
	s_add_nc_u64 s[4:5], s[4:5], s[12:13]
	v_add_co_ci_u32_e64 v13, null, 0, v7, s2
	v_cmp_eq_u32_e64 s2, 0, v6
	v_cmp_gt_u32_e64 s3, 16, v0
	v_lshl_add_u64 v[10:11], v[10:11], 3, s[8:9]
	s_delay_alu instid0(VALU_DEP_4)
	v_lshlrev_b32_e32 v22, 2, v13
	v_add_nc_u64_e32 v[6:7], s[4:5], v[2:3]
	s_lshl_b64 s[14:15], s[6:7], 3
	s_lshl_b64 s[26:27], s[30:31], 3
	s_add_nc_u64 s[12:13], s[20:21], s[14:15]
	s_lshl_b64 s[14:15], s[10:11], 3
	s_lshl_b64 s[20:21], s[18:19], 3
	s_branch .LBB28_3
.LBB28_2:                               ;   in Loop: Header=BB28_3 Depth=1
	s_wait_xcnt 0x0
	s_or_b32 exec_lo, exec_lo, s4
	s_add_co_i32 s24, s24, 0x10000
	s_delay_alu instid0(SALU_CYCLE_1)
	s_cmp_lt_u32 s24, s28
	s_cbranch_scc0 .LBB28_21
.LBB28_3:                               ; =>This Loop Header: Depth=1
                                        ;     Child Loop BB28_15 Depth 2
	s_wait_dscnt 0x0
	v_mov_b64_e32 v[12:13], 0
	s_and_saveexec_b32 s4, vcc_lo
	s_cbranch_execnz .LBB28_12
; %bb.4:                                ;   in Loop: Header=BB28_3 Depth=1
	s_or_b32 exec_lo, exec_lo, s4
	s_and_saveexec_b32 s5, s1
	s_cbranch_execnz .LBB28_13
.LBB28_5:                               ;   in Loop: Header=BB28_3 Depth=1
	s_or_b32 exec_lo, exec_lo, s5
	s_and_saveexec_b32 s4, s0
.LBB28_6:                               ;   in Loop: Header=BB28_3 Depth=1
	ds_store_b64 v18, v[8:9]
.LBB28_7:                               ;   in Loop: Header=BB28_3 Depth=1
	s_or_b32 exec_lo, exec_lo, s4
	ds_bpermute_b32 v14, v19, v12
	ds_bpermute_b32 v15, v19, v13
	s_wait_dscnt 0x0
	s_barrier_signal -1
	s_barrier_wait -1
	v_pk_add_f32 v[12:13], v[12:13], v[14:15]
	ds_bpermute_b32 v14, v1, v12
	ds_bpermute_b32 v15, v1, v13
	s_wait_dscnt 0x0
	v_pk_add_f32 v[12:13], v[12:13], v[14:15]
	ds_bpermute_b32 v14, v20, v12
	ds_bpermute_b32 v15, v20, v13
	s_wait_dscnt 0x0
	;; [unrolled: 4-line block ×3, first 2 shown]
	v_pk_add_f32 v[12:13], v[12:13], v[14:15]
	ds_bpermute_b32 v14, v22, v12
	ds_bpermute_b32 v15, v22, v13
	s_and_saveexec_b32 s4, s2
	s_cbranch_execz .LBB28_9
; %bb.8:                                ;   in Loop: Header=BB28_3 Depth=1
	s_wait_dscnt 0x0
	v_pk_add_f32 v[12:13], v[12:13], v[14:15]
	ds_store_b64 v23, v[12:13]
.LBB28_9:                               ;   in Loop: Header=BB28_3 Depth=1
	s_or_b32 exec_lo, exec_lo, s4
	v_mov_b64_e32 v[12:13], 0
	s_wait_dscnt 0x0
	s_barrier_signal -1
	s_barrier_wait -1
	s_and_saveexec_b32 s4, s3
	s_cbranch_execnz .LBB28_17
; %bb.10:                               ;   in Loop: Header=BB28_3 Depth=1
	s_or_b32 exec_lo, exec_lo, s4
	s_and_saveexec_b32 s4, s0
	s_cbranch_execnz .LBB28_18
.LBB28_11:                              ;   in Loop: Header=BB28_3 Depth=1
	s_or_b32 exec_lo, exec_lo, s4
	s_and_saveexec_b32 s4, vcc_lo
	s_cbranch_execz .LBB28_2
	s_branch .LBB28_19
.LBB28_12:                              ;   in Loop: Header=BB28_3 Depth=1
	s_mul_u64 s[30:31], s[10:11], s[24:25]
	s_delay_alu instid0(SALU_CYCLE_1) | instskip(SKIP_1) | instid1(SALU_CYCLE_1)
	v_lshl_add_u64 v[12:13], s[30:31], 3, v[4:5]
	s_mul_u64 s[30:31], s[18:19], s[24:25]
	s_lshl_b64 s[30:31], s[30:31], 3
	s_delay_alu instid0(SALU_CYCLE_1) | instskip(NEXT) | instid1(VALU_DEP_1)
	s_add_nc_u64 s[30:31], s[8:9], s[30:31]
	v_lshl_add_u64 v[12:13], s[6:7], 3, v[12:13]
	s_add_nc_u64 s[30:31], s[30:31], s[26:27]
	global_load_b64 v[14:15], v[12:13], off
	global_load_b64 v[16:17], v3, s[30:31]
	s_wait_loadcnt 0x0
	s_wait_xcnt 0x1
	v_pk_mul_f32 v[12:13], v[16:17], v[14:15] op_sel:[1,1] op_sel_hi:[0,1]
	s_delay_alu instid0(VALU_DEP_1) | instskip(SKIP_1) | instid1(VALU_DEP_2)
	v_pk_fma_f32 v[24:25], v[16:17], v[14:15], v[12:13] op_sel_hi:[1,0,1]
	v_pk_fma_f32 v[12:13], v[16:17], v[14:15], v[12:13] neg_lo:[0,0,1] neg_hi:[0,0,1]
	v_mov_b32_e32 v13, v25
	s_delay_alu instid0(VALU_DEP_1)
	v_pk_add_f32 v[12:13], v[12:13], 0 op_sel_hi:[1,0]
	s_wait_xcnt 0x0
	s_or_b32 exec_lo, exec_lo, s4
	s_and_saveexec_b32 s5, s1
	s_cbranch_execz .LBB28_5
.LBB28_13:                              ;   in Loop: Header=BB28_3 Depth=1
	v_mad_nc_u64_u32 v[14:15], s14, s24, v[6:7]
	v_mad_nc_u64_u32 v[16:17], s20, s24, v[10:11]
	v_mov_b32_e32 v2, v0
	s_mov_b32 s30, 0
	s_delay_alu instid0(VALU_DEP_3) | instskip(NEXT) | instid1(VALU_DEP_3)
	v_mad_u32 v15, s15, s24, v15
	v_mad_u32 v17, s21, s24, v17
	s_branch .LBB28_15
.LBB28_14:                              ;   in Loop: Header=BB28_15 Depth=2
	s_wait_xcnt 0x0
	s_or_b32 exec_lo, exec_lo, s31
	v_add_nc_u32_e32 v2, 0x200, v2
	s_delay_alu instid0(VALU_DEP_4) | instskip(NEXT) | instid1(VALU_DEP_4)
	v_add_nc_u64_e32 v[14:15], 0x1000, v[14:15]
	v_add_nc_u64_e32 v[16:17], s[16:17], v[16:17]
	s_delay_alu instid0(VALU_DEP_3) | instskip(SKIP_1) | instid1(SALU_CYCLE_1)
	v_cmp_le_i32_e64 s4, s29, v2
	s_or_b32 s30, s4, s30
	s_and_not1_b32 exec_lo, exec_lo, s30
	s_cbranch_execz .LBB28_20
.LBB28_15:                              ;   Parent Loop BB28_3 Depth=1
                                        ; =>  This Inner Loop Header: Depth=2
	s_mov_b32 s31, exec_lo
	v_cmpx_gt_i32_e64 s6, v2
	s_cbranch_execz .LBB28_14
; %bb.16:                               ;   in Loop: Header=BB28_15 Depth=2
	global_load_b64 v[24:25], v[14:15], off
	global_load_b64 v[26:27], v[16:17], off
	s_wait_loadcnt 0x0
	v_pk_mul_f32 v[28:29], v[26:27], v[24:25] op_sel:[1,1] op_sel_hi:[0,1]
	s_delay_alu instid0(VALU_DEP_1) | instskip(SKIP_1) | instid1(VALU_DEP_2)
	v_pk_fma_f32 v[30:31], v[26:27], v[24:25], v[28:29] op_sel_hi:[1,0,1]
	v_pk_fma_f32 v[24:25], v[26:27], v[24:25], v[28:29] neg_lo:[0,0,1] neg_hi:[0,0,1]
	v_mov_b32_e32 v25, v31
	s_delay_alu instid0(VALU_DEP_1)
	v_pk_add_f32 v[12:13], v[12:13], v[24:25]
	s_branch .LBB28_14
.LBB28_17:                              ;   in Loop: Header=BB28_3 Depth=1
	ds_load_b64 v[12:13], v18
	s_or_b32 exec_lo, exec_lo, s4
	s_and_saveexec_b32 s4, s0
	s_cbranch_execz .LBB28_11
.LBB28_18:                              ;   in Loop: Header=BB28_3 Depth=1
	s_wait_dscnt 0x0
	ds_bpermute_b32 v14, v1, v12
	ds_bpermute_b32 v15, v1, v13
	s_wait_dscnt 0x0
	v_pk_add_f32 v[12:13], v[12:13], v[14:15]
	ds_bpermute_b32 v14, v20, v12
	ds_bpermute_b32 v15, v20, v13
	s_wait_dscnt 0x0
	v_pk_add_f32 v[12:13], v[12:13], v[14:15]
	;; [unrolled: 4-line block ×4, first 2 shown]
	s_or_b32 exec_lo, exec_lo, s4
	s_and_saveexec_b32 s4, vcc_lo
	s_cbranch_execz .LBB28_2
.LBB28_19:                              ;   in Loop: Header=BB28_3 Depth=1
	s_mul_u64 s[30:31], s[22:23], s[24:25]
	s_delay_alu instid0(SALU_CYCLE_1) | instskip(NEXT) | instid1(SALU_CYCLE_1)
	s_lshl_b64 s[30:31], s[30:31], 3
	s_add_nc_u64 s[30:31], s[12:13], s[30:31]
	s_wait_dscnt 0x0
	global_store_b64 v3, v[12:13], s[30:31]
	s_branch .LBB28_2
.LBB28_20:                              ;   in Loop: Header=BB28_3 Depth=1
	s_or_b32 exec_lo, exec_lo, s30
	s_delay_alu instid0(SALU_CYCLE_1)
	s_or_b32 exec_lo, exec_lo, s5
	s_and_saveexec_b32 s4, s0
	s_cbranch_execnz .LBB28_6
	s_branch .LBB28_7
.LBB28_21:
	s_endpgm
	.section	.rodata,"a",@progbits
	.p2align	6, 0x0
	.amdhsa_kernel _ZL20rocblas_trmvt_kernelILi512ELb0ELb0ELb0EPK19rocblas_complex_numIfEPS1_S4_EviT3_lllT4_lllT5_li
		.amdhsa_group_segment_fixed_size 256
		.amdhsa_private_segment_fixed_size 0
		.amdhsa_kernarg_size 92
		.amdhsa_user_sgpr_count 2
		.amdhsa_user_sgpr_dispatch_ptr 0
		.amdhsa_user_sgpr_queue_ptr 0
		.amdhsa_user_sgpr_kernarg_segment_ptr 1
		.amdhsa_user_sgpr_dispatch_id 0
		.amdhsa_user_sgpr_kernarg_preload_length 0
		.amdhsa_user_sgpr_kernarg_preload_offset 0
		.amdhsa_user_sgpr_private_segment_size 0
		.amdhsa_wavefront_size32 1
		.amdhsa_uses_dynamic_stack 0
		.amdhsa_enable_private_segment 0
		.amdhsa_system_sgpr_workgroup_id_x 1
		.amdhsa_system_sgpr_workgroup_id_y 0
		.amdhsa_system_sgpr_workgroup_id_z 1
		.amdhsa_system_sgpr_workgroup_info 0
		.amdhsa_system_vgpr_workitem_id 0
		.amdhsa_next_free_vgpr 32
		.amdhsa_next_free_sgpr 32
		.amdhsa_named_barrier_count 0
		.amdhsa_reserve_vcc 1
		.amdhsa_float_round_mode_32 0
		.amdhsa_float_round_mode_16_64 0
		.amdhsa_float_denorm_mode_32 3
		.amdhsa_float_denorm_mode_16_64 3
		.amdhsa_fp16_overflow 0
		.amdhsa_memory_ordered 1
		.amdhsa_forward_progress 1
		.amdhsa_inst_pref_size 10
		.amdhsa_round_robin_scheduling 0
		.amdhsa_exception_fp_ieee_invalid_op 0
		.amdhsa_exception_fp_denorm_src 0
		.amdhsa_exception_fp_ieee_div_zero 0
		.amdhsa_exception_fp_ieee_overflow 0
		.amdhsa_exception_fp_ieee_underflow 0
		.amdhsa_exception_fp_ieee_inexact 0
		.amdhsa_exception_int_div_zero 0
	.end_amdhsa_kernel
	.section	.text._ZL20rocblas_trmvt_kernelILi512ELb0ELb0ELb0EPK19rocblas_complex_numIfEPS1_S4_EviT3_lllT4_lllT5_li,"axG",@progbits,_ZL20rocblas_trmvt_kernelILi512ELb0ELb0ELb0EPK19rocblas_complex_numIfEPS1_S4_EviT3_lllT4_lllT5_li,comdat
.Lfunc_end28:
	.size	_ZL20rocblas_trmvt_kernelILi512ELb0ELb0ELb0EPK19rocblas_complex_numIfEPS1_S4_EviT3_lllT4_lllT5_li, .Lfunc_end28-_ZL20rocblas_trmvt_kernelILi512ELb0ELb0ELb0EPK19rocblas_complex_numIfEPS1_S4_EviT3_lllT4_lllT5_li
                                        ; -- End function
	.set _ZL20rocblas_trmvt_kernelILi512ELb0ELb0ELb0EPK19rocblas_complex_numIfEPS1_S4_EviT3_lllT4_lllT5_li.num_vgpr, 32
	.set _ZL20rocblas_trmvt_kernelILi512ELb0ELb0ELb0EPK19rocblas_complex_numIfEPS1_S4_EviT3_lllT4_lllT5_li.num_agpr, 0
	.set _ZL20rocblas_trmvt_kernelILi512ELb0ELb0ELb0EPK19rocblas_complex_numIfEPS1_S4_EviT3_lllT4_lllT5_li.numbered_sgpr, 32
	.set _ZL20rocblas_trmvt_kernelILi512ELb0ELb0ELb0EPK19rocblas_complex_numIfEPS1_S4_EviT3_lllT4_lllT5_li.num_named_barrier, 0
	.set _ZL20rocblas_trmvt_kernelILi512ELb0ELb0ELb0EPK19rocblas_complex_numIfEPS1_S4_EviT3_lllT4_lllT5_li.private_seg_size, 0
	.set _ZL20rocblas_trmvt_kernelILi512ELb0ELb0ELb0EPK19rocblas_complex_numIfEPS1_S4_EviT3_lllT4_lllT5_li.uses_vcc, 1
	.set _ZL20rocblas_trmvt_kernelILi512ELb0ELb0ELb0EPK19rocblas_complex_numIfEPS1_S4_EviT3_lllT4_lllT5_li.uses_flat_scratch, 0
	.set _ZL20rocblas_trmvt_kernelILi512ELb0ELb0ELb0EPK19rocblas_complex_numIfEPS1_S4_EviT3_lllT4_lllT5_li.has_dyn_sized_stack, 0
	.set _ZL20rocblas_trmvt_kernelILi512ELb0ELb0ELb0EPK19rocblas_complex_numIfEPS1_S4_EviT3_lllT4_lllT5_li.has_recursion, 0
	.set _ZL20rocblas_trmvt_kernelILi512ELb0ELb0ELb0EPK19rocblas_complex_numIfEPS1_S4_EviT3_lllT4_lllT5_li.has_indirect_call, 0
	.section	.AMDGPU.csdata,"",@progbits
; Kernel info:
; codeLenInByte = 1264
; TotalNumSgprs: 34
; NumVgprs: 32
; ScratchSize: 0
; MemoryBound: 0
; FloatMode: 240
; IeeeMode: 1
; LDSByteSize: 256 bytes/workgroup (compile time only)
; SGPRBlocks: 0
; VGPRBlocks: 1
; NumSGPRsForWavesPerEU: 34
; NumVGPRsForWavesPerEU: 32
; NamedBarCnt: 0
; Occupancy: 16
; WaveLimiterHint : 0
; COMPUTE_PGM_RSRC2:SCRATCH_EN: 0
; COMPUTE_PGM_RSRC2:USER_SGPR: 2
; COMPUTE_PGM_RSRC2:TRAP_HANDLER: 0
; COMPUTE_PGM_RSRC2:TGID_X_EN: 1
; COMPUTE_PGM_RSRC2:TGID_Y_EN: 0
; COMPUTE_PGM_RSRC2:TGID_Z_EN: 1
; COMPUTE_PGM_RSRC2:TIDIG_COMP_CNT: 0
	.section	.text._ZL20rocblas_trmvt_kernelILi512ELb0ELb1ELb0EPK19rocblas_complex_numIfEPS1_S4_EviT3_lllT4_lllT5_li,"axG",@progbits,_ZL20rocblas_trmvt_kernelILi512ELb0ELb1ELb0EPK19rocblas_complex_numIfEPS1_S4_EviT3_lllT4_lllT5_li,comdat
	.globl	_ZL20rocblas_trmvt_kernelILi512ELb0ELb1ELb0EPK19rocblas_complex_numIfEPS1_S4_EviT3_lllT4_lllT5_li ; -- Begin function _ZL20rocblas_trmvt_kernelILi512ELb0ELb1ELb0EPK19rocblas_complex_numIfEPS1_S4_EviT3_lllT4_lllT5_li
	.p2align	8
	.type	_ZL20rocblas_trmvt_kernelILi512ELb0ELb1ELb0EPK19rocblas_complex_numIfEPS1_S4_EviT3_lllT4_lllT5_li,@function
_ZL20rocblas_trmvt_kernelILi512ELb0ELb1ELb0EPK19rocblas_complex_numIfEPS1_S4_EviT3_lllT4_lllT5_li: ; @_ZL20rocblas_trmvt_kernelILi512ELb0ELb1ELb0EPK19rocblas_complex_numIfEPS1_S4_EviT3_lllT4_lllT5_li
; %bb.0:
	s_load_b32 s28, s[0:1], 0x58
	s_bfe_u32 s2, ttmp6, 0x40014
	s_lshr_b32 s3, ttmp7, 16
	s_add_co_i32 s2, s2, 1
	s_bfe_u32 s5, ttmp6, 0x40008
	s_mul_i32 s4, s3, s2
	s_getreg_b32 s2, hwreg(HW_REG_IB_STS2, 6, 4)
	s_add_co_i32 s5, s5, s4
	s_cmp_eq_u32 s2, 0
	s_mov_b32 s25, 0
	s_cselect_b32 s24, s3, s5
	s_wait_kmcnt 0x0
	s_cmp_ge_u32 s24, s28
	s_cbranch_scc1 .LBB29_21
; %bb.1:
	s_clause 0x2
	s_load_b32 s29, s[0:1], 0x0
	s_load_b512 s[4:19], s[0:1], 0x8
	s_load_b128 s[20:23], s[0:1], 0x48
	v_mbcnt_lo_u32_b32 v6, -1, 0
	s_wait_xcnt 0x0
	s_bfe_u32 s0, ttmp6, 0x4000c
	v_dual_mov_b32 v3, 0 :: v_dual_bitop2_b32 v8, 31, v0 bitop3:0x40
	s_add_co_i32 s1, s0, 1
	s_and_b32 s3, ttmp6, 15
	s_mul_i32 s26, ttmp9, s1
	v_cmp_gt_u32_e64 s1, 24, v6
	v_dual_mov_b32 v1, v3 :: v_dual_lshlrev_b32 v18, 3, v8
	s_add_co_i32 s30, s3, s26
	v_lshl_or_b32 v19, v6, 2, 64
	v_cndmask_b32_e64 v2, 0, 8, s1
	v_cmp_gt_u32_e64 s1, 28, v6
	v_cmp_gt_u32_e64 s0, 32, v0
	v_cmp_eq_u32_e32 vcc_lo, 0, v0
	v_lshrrev_b32_e32 v12, 2, v0
	v_add_lshl_u32 v20, v2, v6, 2
	v_cndmask_b32_e64 v7, 0, 4, s1
	s_wait_kmcnt 0x0
	v_cmp_gt_i32_e64 s1, s29, v0
	s_lshl_b64 s[14:15], s[14:15], 3
	v_mul_u64_e32 v[10:11], s[16:17], v[0:1]
	s_lshl_b64 s[26:27], s[6:7], 3
	s_cmp_eq_u32 s2, 0
	v_cndmask_b32_e64 v4, 0, v0, s1
	s_cselect_b32 s6, ttmp9, s30
	s_add_nc_u64 s[2:3], s[4:5], s[26:27]
	s_ashr_i32 s7, s6, 31
	v_add_lshl_u32 v1, v7, v6, 2
	v_lshlrev_b32_e32 v2, 3, v4
	v_and_b32_e32 v22, 0x78, v12
	s_mul_u64 s[30:31], s[16:17], s[6:7]
	s_lshl_b64 s[16:17], s[16:17], 12
	s_delay_alu instid0(VALU_DEP_2)
	v_add_nc_u64_e32 v[4:5], s[2:3], v[2:3]
	s_mul_u64 s[2:3], s[8:9], s[6:7]
	s_add_nc_u64 s[8:9], s[12:13], s[14:15]
	s_lshl_b64 s[12:13], s[2:3], 3
	v_cmp_gt_u32_e64 s2, 30, v6
	s_lshl_b64 s[14:15], s[10:11], 3
	v_add_nc_u64_e32 v[4:5], s[12:13], v[4:5]
	v_cndmask_b32_e64 v7, 0, 2, s2
	v_cmp_ne_u32_e64 s2, 31, v6
	s_delay_alu instid0(VALU_DEP_2) | instskip(NEXT) | instid1(VALU_DEP_2)
	v_add_lshl_u32 v21, v7, v6, 2
	v_add_co_ci_u32_e64 v9, null, 0, v6, s2
	s_add_nc_u64 s[2:3], s[12:13], s[26:27]
	s_lshl_b64 s[26:27], s[30:31], 3
	s_add_nc_u64 s[2:3], s[4:5], s[2:3]
	v_lshl_add_u64 v[10:11], v[10:11], 3, s[8:9]
	v_add_nc_u64_e32 v[6:7], s[2:3], v[2:3]
	v_lshlrev_b32_e32 v2, 2, v9
	v_cmp_eq_u32_e64 s2, 0, v8
	v_mov_b64_e32 v[8:9], 0
	v_cmp_gt_u32_e64 s3, 16, v0
	s_lshl_b64 s[4:5], s[6:7], 3
	v_add_nc_u64_e32 v[6:7], 4, v[6:7]
	s_add_nc_u64 s[12:13], s[20:21], s[4:5]
	s_lshl_b64 s[20:21], s[18:19], 3
	s_branch .LBB29_3
.LBB29_2:                               ;   in Loop: Header=BB29_3 Depth=1
	s_wait_xcnt 0x0
	s_or_b32 exec_lo, exec_lo, s4
	s_add_co_i32 s24, s24, 0x10000
	s_delay_alu instid0(SALU_CYCLE_1)
	s_cmp_lt_u32 s24, s28
	s_cbranch_scc0 .LBB29_21
.LBB29_3:                               ; =>This Loop Header: Depth=1
                                        ;     Child Loop BB29_15 Depth 2
	s_wait_dscnt 0x0
	v_mov_b64_e32 v[12:13], 0
	s_and_saveexec_b32 s4, vcc_lo
	s_cbranch_execnz .LBB29_12
; %bb.4:                                ;   in Loop: Header=BB29_3 Depth=1
	s_or_b32 exec_lo, exec_lo, s4
	s_and_saveexec_b32 s5, s1
	s_cbranch_execnz .LBB29_13
.LBB29_5:                               ;   in Loop: Header=BB29_3 Depth=1
	s_or_b32 exec_lo, exec_lo, s5
	s_and_saveexec_b32 s4, s0
.LBB29_6:                               ;   in Loop: Header=BB29_3 Depth=1
	ds_store_b64 v18, v[8:9]
.LBB29_7:                               ;   in Loop: Header=BB29_3 Depth=1
	s_or_b32 exec_lo, exec_lo, s4
	ds_bpermute_b32 v14, v19, v12
	ds_bpermute_b32 v15, v19, v13
	s_wait_dscnt 0x0
	s_barrier_signal -1
	s_barrier_wait -1
	v_pk_add_f32 v[12:13], v[12:13], v[14:15]
	ds_bpermute_b32 v14, v20, v12
	ds_bpermute_b32 v15, v20, v13
	s_wait_dscnt 0x0
	v_pk_add_f32 v[12:13], v[12:13], v[14:15]
	ds_bpermute_b32 v14, v1, v12
	ds_bpermute_b32 v15, v1, v13
	s_wait_dscnt 0x0
	;; [unrolled: 4-line block ×3, first 2 shown]
	v_pk_add_f32 v[12:13], v[12:13], v[14:15]
	ds_bpermute_b32 v14, v2, v12
	ds_bpermute_b32 v15, v2, v13
	s_and_saveexec_b32 s4, s2
	s_cbranch_execz .LBB29_9
; %bb.8:                                ;   in Loop: Header=BB29_3 Depth=1
	s_wait_dscnt 0x0
	v_pk_add_f32 v[12:13], v[12:13], v[14:15]
	ds_store_b64 v22, v[12:13]
.LBB29_9:                               ;   in Loop: Header=BB29_3 Depth=1
	s_or_b32 exec_lo, exec_lo, s4
	v_mov_b64_e32 v[12:13], 0
	s_wait_dscnt 0x0
	s_barrier_signal -1
	s_barrier_wait -1
	s_and_saveexec_b32 s4, s3
	s_cbranch_execnz .LBB29_17
; %bb.10:                               ;   in Loop: Header=BB29_3 Depth=1
	s_or_b32 exec_lo, exec_lo, s4
	s_and_saveexec_b32 s4, s0
	s_cbranch_execnz .LBB29_18
.LBB29_11:                              ;   in Loop: Header=BB29_3 Depth=1
	s_or_b32 exec_lo, exec_lo, s4
	s_and_saveexec_b32 s4, vcc_lo
	s_cbranch_execz .LBB29_2
	s_branch .LBB29_19
.LBB29_12:                              ;   in Loop: Header=BB29_3 Depth=1
	s_mul_u64 s[30:31], s[10:11], s[24:25]
	s_delay_alu instid0(SALU_CYCLE_1) | instskip(SKIP_1) | instid1(SALU_CYCLE_1)
	v_lshl_add_u64 v[12:13], s[30:31], 3, v[4:5]
	s_mul_u64 s[30:31], s[18:19], s[24:25]
	s_lshl_b64 s[30:31], s[30:31], 3
	s_delay_alu instid0(SALU_CYCLE_1) | instskip(NEXT) | instid1(VALU_DEP_1)
	s_add_nc_u64 s[30:31], s[8:9], s[30:31]
	v_lshl_add_u64 v[12:13], s[6:7], 3, v[12:13]
	s_add_nc_u64 s[30:31], s[30:31], s[26:27]
	global_load_b64 v[14:15], v[12:13], off
	global_load_b64 v[16:17], v3, s[30:31]
	s_wait_loadcnt 0x0
	s_wait_xcnt 0x1
	v_pk_mul_f32 v[12:13], v[14:15], v[16:17] op_sel:[1,1] op_sel_hi:[1,0]
	s_delay_alu instid0(VALU_DEP_1) | instskip(SKIP_1) | instid1(VALU_DEP_2)
	v_pk_fma_f32 v[24:25], v[14:15], v[16:17], v[12:13] op_sel_hi:[0,1,1] neg_lo:[0,0,1] neg_hi:[0,0,1]
	v_pk_fma_f32 v[12:13], v[14:15], v[16:17], v[12:13]
	v_mov_b32_e32 v13, v25
	s_delay_alu instid0(VALU_DEP_1)
	v_pk_add_f32 v[12:13], v[12:13], 0 op_sel_hi:[1,0]
	s_wait_xcnt 0x0
	s_or_b32 exec_lo, exec_lo, s4
	s_and_saveexec_b32 s5, s1
	s_cbranch_execz .LBB29_5
.LBB29_13:                              ;   in Loop: Header=BB29_3 Depth=1
	v_mad_nc_u64_u32 v[14:15], s14, s24, v[6:7]
	v_mad_nc_u64_u32 v[16:17], s20, s24, v[10:11]
	v_mov_b32_e32 v23, v0
	s_mov_b32 s30, 0
	s_delay_alu instid0(VALU_DEP_3) | instskip(NEXT) | instid1(VALU_DEP_3)
	v_mad_u32 v15, s15, s24, v15
	v_mad_u32 v17, s21, s24, v17
	s_branch .LBB29_15
.LBB29_14:                              ;   in Loop: Header=BB29_15 Depth=2
	s_wait_xcnt 0x0
	s_or_b32 exec_lo, exec_lo, s31
	v_add_nc_u32_e32 v23, 0x200, v23
	s_delay_alu instid0(VALU_DEP_4) | instskip(NEXT) | instid1(VALU_DEP_4)
	v_add_nc_u64_e32 v[14:15], 0x1000, v[14:15]
	v_add_nc_u64_e32 v[16:17], s[16:17], v[16:17]
	s_delay_alu instid0(VALU_DEP_3) | instskip(SKIP_1) | instid1(SALU_CYCLE_1)
	v_cmp_le_i32_e64 s4, s29, v23
	s_or_b32 s30, s4, s30
	s_and_not1_b32 exec_lo, exec_lo, s30
	s_cbranch_execz .LBB29_20
.LBB29_15:                              ;   Parent Loop BB29_3 Depth=1
                                        ; =>  This Inner Loop Header: Depth=2
	s_mov_b32 s31, exec_lo
	v_cmpx_gt_i32_e64 s6, v23
	s_cbranch_execz .LBB29_14
; %bb.16:                               ;   in Loop: Header=BB29_15 Depth=2
	global_load_b64 v[24:25], v[14:15], off offset:-4
	global_load_b64 v[26:27], v[16:17], off
	s_wait_loadcnt 0x0
	v_pk_mul_f32 v[28:29], v[24:25], v[26:27] op_sel:[1,1] op_sel_hi:[1,0]
	s_delay_alu instid0(VALU_DEP_1) | instskip(SKIP_1) | instid1(VALU_DEP_2)
	v_pk_fma_f32 v[30:31], v[24:25], v[26:27], v[28:29] op_sel_hi:[0,1,1] neg_lo:[0,0,1] neg_hi:[0,0,1]
	v_pk_fma_f32 v[24:25], v[24:25], v[26:27], v[28:29]
	v_mov_b32_e32 v25, v31
	s_delay_alu instid0(VALU_DEP_1)
	v_pk_add_f32 v[12:13], v[12:13], v[24:25]
	s_branch .LBB29_14
.LBB29_17:                              ;   in Loop: Header=BB29_3 Depth=1
	ds_load_b64 v[12:13], v18
	s_or_b32 exec_lo, exec_lo, s4
	s_and_saveexec_b32 s4, s0
	s_cbranch_execz .LBB29_11
.LBB29_18:                              ;   in Loop: Header=BB29_3 Depth=1
	s_wait_dscnt 0x0
	ds_bpermute_b32 v14, v20, v12
	ds_bpermute_b32 v15, v20, v13
	s_wait_dscnt 0x0
	v_pk_add_f32 v[12:13], v[12:13], v[14:15]
	ds_bpermute_b32 v14, v1, v12
	ds_bpermute_b32 v15, v1, v13
	s_wait_dscnt 0x0
	v_pk_add_f32 v[12:13], v[12:13], v[14:15]
	;; [unrolled: 4-line block ×4, first 2 shown]
	s_or_b32 exec_lo, exec_lo, s4
	s_and_saveexec_b32 s4, vcc_lo
	s_cbranch_execz .LBB29_2
.LBB29_19:                              ;   in Loop: Header=BB29_3 Depth=1
	s_mul_u64 s[30:31], s[22:23], s[24:25]
	s_delay_alu instid0(SALU_CYCLE_1) | instskip(NEXT) | instid1(SALU_CYCLE_1)
	s_lshl_b64 s[30:31], s[30:31], 3
	s_add_nc_u64 s[30:31], s[12:13], s[30:31]
	s_wait_dscnt 0x0
	global_store_b64 v3, v[12:13], s[30:31]
	s_branch .LBB29_2
.LBB29_20:                              ;   in Loop: Header=BB29_3 Depth=1
	s_or_b32 exec_lo, exec_lo, s30
	s_delay_alu instid0(SALU_CYCLE_1)
	s_or_b32 exec_lo, exec_lo, s5
	s_and_saveexec_b32 s4, s0
	s_cbranch_execnz .LBB29_6
	s_branch .LBB29_7
.LBB29_21:
	s_endpgm
	.section	.rodata,"a",@progbits
	.p2align	6, 0x0
	.amdhsa_kernel _ZL20rocblas_trmvt_kernelILi512ELb0ELb1ELb0EPK19rocblas_complex_numIfEPS1_S4_EviT3_lllT4_lllT5_li
		.amdhsa_group_segment_fixed_size 256
		.amdhsa_private_segment_fixed_size 0
		.amdhsa_kernarg_size 92
		.amdhsa_user_sgpr_count 2
		.amdhsa_user_sgpr_dispatch_ptr 0
		.amdhsa_user_sgpr_queue_ptr 0
		.amdhsa_user_sgpr_kernarg_segment_ptr 1
		.amdhsa_user_sgpr_dispatch_id 0
		.amdhsa_user_sgpr_kernarg_preload_length 0
		.amdhsa_user_sgpr_kernarg_preload_offset 0
		.amdhsa_user_sgpr_private_segment_size 0
		.amdhsa_wavefront_size32 1
		.amdhsa_uses_dynamic_stack 0
		.amdhsa_enable_private_segment 0
		.amdhsa_system_sgpr_workgroup_id_x 1
		.amdhsa_system_sgpr_workgroup_id_y 0
		.amdhsa_system_sgpr_workgroup_id_z 1
		.amdhsa_system_sgpr_workgroup_info 0
		.amdhsa_system_vgpr_workitem_id 0
		.amdhsa_next_free_vgpr 32
		.amdhsa_next_free_sgpr 32
		.amdhsa_named_barrier_count 0
		.amdhsa_reserve_vcc 1
		.amdhsa_float_round_mode_32 0
		.amdhsa_float_round_mode_16_64 0
		.amdhsa_float_denorm_mode_32 3
		.amdhsa_float_denorm_mode_16_64 3
		.amdhsa_fp16_overflow 0
		.amdhsa_memory_ordered 1
		.amdhsa_forward_progress 1
		.amdhsa_inst_pref_size 10
		.amdhsa_round_robin_scheduling 0
		.amdhsa_exception_fp_ieee_invalid_op 0
		.amdhsa_exception_fp_denorm_src 0
		.amdhsa_exception_fp_ieee_div_zero 0
		.amdhsa_exception_fp_ieee_overflow 0
		.amdhsa_exception_fp_ieee_underflow 0
		.amdhsa_exception_fp_ieee_inexact 0
		.amdhsa_exception_int_div_zero 0
	.end_amdhsa_kernel
	.section	.text._ZL20rocblas_trmvt_kernelILi512ELb0ELb1ELb0EPK19rocblas_complex_numIfEPS1_S4_EviT3_lllT4_lllT5_li,"axG",@progbits,_ZL20rocblas_trmvt_kernelILi512ELb0ELb1ELb0EPK19rocblas_complex_numIfEPS1_S4_EviT3_lllT4_lllT5_li,comdat
.Lfunc_end29:
	.size	_ZL20rocblas_trmvt_kernelILi512ELb0ELb1ELb0EPK19rocblas_complex_numIfEPS1_S4_EviT3_lllT4_lllT5_li, .Lfunc_end29-_ZL20rocblas_trmvt_kernelILi512ELb0ELb1ELb0EPK19rocblas_complex_numIfEPS1_S4_EviT3_lllT4_lllT5_li
                                        ; -- End function
	.set _ZL20rocblas_trmvt_kernelILi512ELb0ELb1ELb0EPK19rocblas_complex_numIfEPS1_S4_EviT3_lllT4_lllT5_li.num_vgpr, 32
	.set _ZL20rocblas_trmvt_kernelILi512ELb0ELb1ELb0EPK19rocblas_complex_numIfEPS1_S4_EviT3_lllT4_lllT5_li.num_agpr, 0
	.set _ZL20rocblas_trmvt_kernelILi512ELb0ELb1ELb0EPK19rocblas_complex_numIfEPS1_S4_EviT3_lllT4_lllT5_li.numbered_sgpr, 32
	.set _ZL20rocblas_trmvt_kernelILi512ELb0ELb1ELb0EPK19rocblas_complex_numIfEPS1_S4_EviT3_lllT4_lllT5_li.num_named_barrier, 0
	.set _ZL20rocblas_trmvt_kernelILi512ELb0ELb1ELb0EPK19rocblas_complex_numIfEPS1_S4_EviT3_lllT4_lllT5_li.private_seg_size, 0
	.set _ZL20rocblas_trmvt_kernelILi512ELb0ELb1ELb0EPK19rocblas_complex_numIfEPS1_S4_EviT3_lllT4_lllT5_li.uses_vcc, 1
	.set _ZL20rocblas_trmvt_kernelILi512ELb0ELb1ELb0EPK19rocblas_complex_numIfEPS1_S4_EviT3_lllT4_lllT5_li.uses_flat_scratch, 0
	.set _ZL20rocblas_trmvt_kernelILi512ELb0ELb1ELb0EPK19rocblas_complex_numIfEPS1_S4_EviT3_lllT4_lllT5_li.has_dyn_sized_stack, 0
	.set _ZL20rocblas_trmvt_kernelILi512ELb0ELb1ELb0EPK19rocblas_complex_numIfEPS1_S4_EviT3_lllT4_lllT5_li.has_recursion, 0
	.set _ZL20rocblas_trmvt_kernelILi512ELb0ELb1ELb0EPK19rocblas_complex_numIfEPS1_S4_EviT3_lllT4_lllT5_li.has_indirect_call, 0
	.section	.AMDGPU.csdata,"",@progbits
; Kernel info:
; codeLenInByte = 1272
; TotalNumSgprs: 34
; NumVgprs: 32
; ScratchSize: 0
; MemoryBound: 0
; FloatMode: 240
; IeeeMode: 1
; LDSByteSize: 256 bytes/workgroup (compile time only)
; SGPRBlocks: 0
; VGPRBlocks: 1
; NumSGPRsForWavesPerEU: 34
; NumVGPRsForWavesPerEU: 32
; NamedBarCnt: 0
; Occupancy: 16
; WaveLimiterHint : 0
; COMPUTE_PGM_RSRC2:SCRATCH_EN: 0
; COMPUTE_PGM_RSRC2:USER_SGPR: 2
; COMPUTE_PGM_RSRC2:TRAP_HANDLER: 0
; COMPUTE_PGM_RSRC2:TGID_X_EN: 1
; COMPUTE_PGM_RSRC2:TGID_Y_EN: 0
; COMPUTE_PGM_RSRC2:TGID_Z_EN: 1
; COMPUTE_PGM_RSRC2:TIDIG_COMP_CNT: 0
	.section	.text._ZL20rocblas_trmvn_kernelILi64ELi16ELb1ELb1EPK19rocblas_complex_numIfEPS1_S4_EviT3_lllT4_lllT5_li,"axG",@progbits,_ZL20rocblas_trmvn_kernelILi64ELi16ELb1ELb1EPK19rocblas_complex_numIfEPS1_S4_EviT3_lllT4_lllT5_li,comdat
	.globl	_ZL20rocblas_trmvn_kernelILi64ELi16ELb1ELb1EPK19rocblas_complex_numIfEPS1_S4_EviT3_lllT4_lllT5_li ; -- Begin function _ZL20rocblas_trmvn_kernelILi64ELi16ELb1ELb1EPK19rocblas_complex_numIfEPS1_S4_EviT3_lllT4_lllT5_li
	.p2align	8
	.type	_ZL20rocblas_trmvn_kernelILi64ELi16ELb1ELb1EPK19rocblas_complex_numIfEPS1_S4_EviT3_lllT4_lllT5_li,@function
_ZL20rocblas_trmvn_kernelILi64ELi16ELb1ELb1EPK19rocblas_complex_numIfEPS1_S4_EviT3_lllT4_lllT5_li: ; @_ZL20rocblas_trmvn_kernelILi64ELi16ELb1ELb1EPK19rocblas_complex_numIfEPS1_S4_EviT3_lllT4_lllT5_li
; %bb.0:
	s_load_b32 s3, s[0:1], 0x58
	s_bfe_u32 s2, ttmp6, 0x40014
	s_lshr_b32 s4, ttmp7, 16
	s_add_co_i32 s2, s2, 1
	s_bfe_u32 s6, ttmp6, 0x40008
	s_mul_i32 s5, s4, s2
	s_getreg_b32 s2, hwreg(HW_REG_IB_STS2, 6, 4)
	s_add_co_i32 s6, s6, s5
	s_cmp_eq_u32 s2, 0
	s_mov_b32 s25, 0
	s_cselect_b32 s24, s4, s6
	s_wait_kmcnt 0x0
	s_cmp_ge_u32 s24, s3
	s_cbranch_scc1 .LBB30_14
; %bb.1:
	s_clause 0x1
	s_load_b512 s[4:19], s[0:1], 0x8
	s_load_b32 s20, s[0:1], 0x6c
	s_bfe_u32 s21, ttmp6, 0x4000c
	v_and_b32_e32 v12, 0x3ff, v0
	s_add_co_i32 s21, s21, 1
	v_bfe_u32 v2, v0, 10, 10
	s_delay_alu instid0(VALU_DEP_1)
	v_dual_lshlrev_b32 v14, 3, v12 :: v_dual_lshlrev_b32 v15, 9, v2
	s_wait_kmcnt 0x0
	s_lshl_b64 s[26:27], s[14:15], 3
	s_and_b32 s15, s20, 0xffff
	s_and_b32 s14, ttmp6, 15
	s_mul_i32 s20, ttmp9, s21
	s_delay_alu instid0(SALU_CYCLE_1)
	s_add_co_i32 s14, s14, s20
	s_cmp_eq_u32 s2, 0
	s_load_b128 s[20:23], s[0:1], 0x48
	s_cselect_b32 s2, ttmp9, s14
	s_load_b32 s14, s[0:1], 0x0
	v_lshl_add_u32 v0, s2, 6, v12
	v_mov_b32_e32 v3, 0
	s_lshl_b64 s[28:29], s[6:7], 3
	s_wait_xcnt 0x0
	v_cmp_eq_u32_e64 s0, 0, v2
	s_add_nc_u64 s[6:7], s[12:13], s[26:27]
	v_ashrrev_i32_e32 v1, 31, v0
	v_mul_u64_e32 v[6:7], s[8:9], v[2:3]
	v_mul_u64_e32 v[8:9], s[16:17], v[2:3]
	v_mad_u32_u24 v3, v2, s15, v12
	s_lshl_b64 s[12:13], s[16:17], 7
	v_mul_u64_e32 v[4:5], s[16:17], v[0:1]
	v_lshlrev_b64_e32 v[10:11], 3, v[0:1]
	v_mul_u32_u24_e32 v1, s15, v2
	v_cmp_gt_u32_e64 s1, 64, v3
	v_add_nc_u32_e32 v3, v14, v15
	s_lshl_b64 s[10:11], s[10:11], 3
	s_lshl_b64 s[8:9], s[8:9], 7
	v_lshl_add_u32 v1, v1, 3, v14
	s_wait_kmcnt 0x0
	v_cmp_gt_i32_e32 vcc_lo, s14, v0
	s_and_b32 s15, s0, vcc_lo
	v_cmp_gt_i32_e64 s0, s14, v2
	v_lshl_add_u64 v[6:7], v[6:7], 3, s[28:29]
	v_lshl_add_u64 v[8:9], v[8:9], 3, s[6:7]
	s_delay_alu instid0(VALU_DEP_2) | instskip(SKIP_1) | instid1(VALU_DEP_2)
	v_add_nc_u64_e32 v[12:13], v[6:7], v[10:11]
	v_add_nc_u64_e32 v[6:7], s[20:21], v[10:11]
	;; [unrolled: 1-line block ×3, first 2 shown]
	s_lshl_b64 s[4:5], s[18:19], 3
	s_branch .LBB30_3
.LBB30_2:                               ;   in Loop: Header=BB30_3 Depth=1
	s_wait_xcnt 0x0
	s_or_b32 exec_lo, exec_lo, s2
	s_add_co_i32 s24, s24, 0x10000
	s_delay_alu instid0(SALU_CYCLE_1)
	s_cmp_lt_u32 s24, s3
	s_cbranch_scc0 .LBB30_14
.LBB30_3:                               ; =>This Loop Header: Depth=1
                                        ;     Child Loop BB30_8 Depth 2
	v_mov_b64_e32 v[12:13], 0
	s_and_saveexec_b32 s2, s15
	s_cbranch_execz .LBB30_5
; %bb.4:                                ;   in Loop: Header=BB30_3 Depth=1
	s_mul_u64 s[16:17], s[18:19], s[24:25]
	s_delay_alu instid0(SALU_CYCLE_1) | instskip(NEXT) | instid1(SALU_CYCLE_1)
	s_lshl_b64 s[16:17], s[16:17], 3
	s_add_nc_u64 s[16:17], s[6:7], s[16:17]
	s_delay_alu instid0(SALU_CYCLE_1)
	v_lshl_add_u64 v[12:13], v[4:5], 3, s[16:17]
	global_load_b64 v[12:13], v[12:13], off
.LBB30_5:                               ;   in Loop: Header=BB30_3 Depth=1
	s_wait_xcnt 0x0
	s_or_b32 exec_lo, exec_lo, s2
	s_and_saveexec_b32 s16, s0
	s_cbranch_execz .LBB30_11
; %bb.6:                                ;   in Loop: Header=BB30_3 Depth=1
	v_mad_nc_u64_u32 v[14:15], s4, s24, v[8:9]
	v_mad_nc_u64_u32 v[16:17], s10, s24, v[10:11]
	v_mov_b32_e32 v18, v2
	s_mov_b32 s17, 0
	s_delay_alu instid0(VALU_DEP_3) | instskip(NEXT) | instid1(VALU_DEP_3)
	v_mad_u32 v15, s5, s24, v15
	v_mad_u32 v17, s11, s24, v17
	s_branch .LBB30_8
.LBB30_7:                               ;   in Loop: Header=BB30_8 Depth=2
	s_wait_xcnt 0x0
	s_or_b32 exec_lo, exec_lo, s2
	v_add_nc_u32_e32 v18, 16, v18
	v_add_nc_u64_e32 v[14:15], s[12:13], v[14:15]
	v_add_nc_u64_e32 v[16:17], s[8:9], v[16:17]
	s_delay_alu instid0(VALU_DEP_3) | instskip(SKIP_1) | instid1(SALU_CYCLE_1)
	v_cmp_le_i32_e64 s2, s14, v18
	s_or_b32 s17, s2, s17
	s_and_not1_b32 exec_lo, exec_lo, s17
	s_cbranch_execz .LBB30_10
.LBB30_8:                               ;   Parent Loop BB30_3 Depth=1
                                        ; =>  This Inner Loop Header: Depth=2
	v_cmp_lt_i32_e64 s2, v18, v0
	s_and_b32 s20, vcc_lo, s2
	s_delay_alu instid0(SALU_CYCLE_1)
	s_and_saveexec_b32 s2, s20
	s_cbranch_execz .LBB30_7
; %bb.9:                                ;   in Loop: Header=BB30_8 Depth=2
	global_load_b64 v[20:21], v[16:17], off
	global_load_b64 v[22:23], v[14:15], off
	s_wait_loadcnt 0x0
	v_pk_mul_f32 v[24:25], v[22:23], v[20:21] op_sel:[1,1] op_sel_hi:[0,1]
	s_delay_alu instid0(VALU_DEP_1) | instskip(SKIP_1) | instid1(VALU_DEP_2)
	v_pk_fma_f32 v[26:27], v[22:23], v[20:21], v[24:25] op_sel_hi:[1,0,1]
	v_pk_fma_f32 v[20:21], v[22:23], v[20:21], v[24:25] neg_lo:[0,0,1] neg_hi:[0,0,1]
	v_mov_b32_e32 v21, v27
	s_delay_alu instid0(VALU_DEP_1)
	v_pk_add_f32 v[12:13], v[12:13], v[20:21]
	s_branch .LBB30_7
.LBB30_10:                              ;   in Loop: Header=BB30_3 Depth=1
	s_or_b32 exec_lo, exec_lo, s17
.LBB30_11:                              ;   in Loop: Header=BB30_3 Depth=1
	s_delay_alu instid0(SALU_CYCLE_1)
	s_or_b32 exec_lo, exec_lo, s16
	s_wait_loadcnt 0x0
	ds_store_b64 v3, v[12:13]
	s_wait_dscnt 0x0
	s_barrier_signal -1
	s_barrier_wait -1
	s_and_saveexec_b32 s2, s1
	s_cbranch_execz .LBB30_2
; %bb.12:                               ;   in Loop: Header=BB30_3 Depth=1
	ds_load_2addr_stride64_b64 v[12:15], v1 offset1:1
	ds_load_2addr_stride64_b64 v[16:19], v1 offset0:2 offset1:3
	ds_load_2addr_stride64_b64 v[20:23], v1 offset0:4 offset1:5
	s_wait_dscnt 0x2
	v_pk_add_f32 v[24:25], v[12:13], v[14:15]
	ds_load_2addr_stride64_b64 v[12:15], v1 offset0:6 offset1:7
	s_wait_dscnt 0x2
	v_pk_add_f32 v[16:17], v[24:25], v[16:17]
	s_delay_alu instid0(VALU_DEP_1) | instskip(SKIP_3) | instid1(VALU_DEP_1)
	v_pk_add_f32 v[24:25], v[16:17], v[18:19]
	ds_load_2addr_stride64_b64 v[16:19], v1 offset0:8 offset1:9
	s_wait_dscnt 0x2
	v_pk_add_f32 v[20:21], v[24:25], v[20:21]
	v_pk_add_f32 v[24:25], v[20:21], v[22:23]
	ds_load_2addr_stride64_b64 v[20:23], v1 offset0:10 offset1:11
	s_wait_dscnt 0x2
	v_pk_add_f32 v[12:13], v[24:25], v[12:13]
	s_delay_alu instid0(VALU_DEP_1) | instskip(SKIP_1) | instid1(VALU_DEP_1)
	v_pk_add_f32 v[12:13], v[12:13], v[14:15]
	s_wait_dscnt 0x1
	v_pk_add_f32 v[16:17], v[12:13], v[16:17]
	ds_load_2addr_stride64_b64 v[12:15], v1 offset0:12 offset1:13
	v_pk_add_f32 v[16:17], v[16:17], v[18:19]
	s_wait_dscnt 0x1
	s_delay_alu instid0(VALU_DEP_1) | instskip(SKIP_3) | instid1(VALU_DEP_1)
	v_pk_add_f32 v[20:21], v[16:17], v[20:21]
	ds_load_2addr_stride64_b64 v[16:19], v1 offset0:14 offset1:15
	v_pk_add_f32 v[20:21], v[20:21], v[22:23]
	s_wait_dscnt 0x1
	v_pk_add_f32 v[12:13], v[20:21], v[12:13]
	s_delay_alu instid0(VALU_DEP_1) | instskip(SKIP_1) | instid1(VALU_DEP_1)
	v_pk_add_f32 v[12:13], v[12:13], v[14:15]
	s_wait_dscnt 0x0
	v_pk_add_f32 v[12:13], v[12:13], v[16:17]
	s_delay_alu instid0(VALU_DEP_1)
	v_pk_add_f32 v[12:13], v[12:13], v[18:19]
	ds_store_b64 v1, v[12:13]
	s_and_b32 exec_lo, exec_lo, vcc_lo
	s_cbranch_execz .LBB30_2
; %bb.13:                               ;   in Loop: Header=BB30_3 Depth=1
	s_mul_u64 s[16:17], s[22:23], s[24:25]
	s_delay_alu instid0(SALU_CYCLE_1)
	v_lshl_add_u64 v[14:15], s[16:17], 3, v[6:7]
	global_store_b64 v[14:15], v[12:13], off
	s_branch .LBB30_2
.LBB30_14:
	s_endpgm
	.section	.rodata,"a",@progbits
	.p2align	6, 0x0
	.amdhsa_kernel _ZL20rocblas_trmvn_kernelILi64ELi16ELb1ELb1EPK19rocblas_complex_numIfEPS1_S4_EviT3_lllT4_lllT5_li
		.amdhsa_group_segment_fixed_size 8192
		.amdhsa_private_segment_fixed_size 0
		.amdhsa_kernarg_size 352
		.amdhsa_user_sgpr_count 2
		.amdhsa_user_sgpr_dispatch_ptr 0
		.amdhsa_user_sgpr_queue_ptr 0
		.amdhsa_user_sgpr_kernarg_segment_ptr 1
		.amdhsa_user_sgpr_dispatch_id 0
		.amdhsa_user_sgpr_kernarg_preload_length 0
		.amdhsa_user_sgpr_kernarg_preload_offset 0
		.amdhsa_user_sgpr_private_segment_size 0
		.amdhsa_wavefront_size32 1
		.amdhsa_uses_dynamic_stack 0
		.amdhsa_enable_private_segment 0
		.amdhsa_system_sgpr_workgroup_id_x 1
		.amdhsa_system_sgpr_workgroup_id_y 0
		.amdhsa_system_sgpr_workgroup_id_z 1
		.amdhsa_system_sgpr_workgroup_info 0
		.amdhsa_system_vgpr_workitem_id 1
		.amdhsa_next_free_vgpr 28
		.amdhsa_next_free_sgpr 30
		.amdhsa_named_barrier_count 0
		.amdhsa_reserve_vcc 1
		.amdhsa_float_round_mode_32 0
		.amdhsa_float_round_mode_16_64 0
		.amdhsa_float_denorm_mode_32 3
		.amdhsa_float_denorm_mode_16_64 3
		.amdhsa_fp16_overflow 0
		.amdhsa_memory_ordered 1
		.amdhsa_forward_progress 1
		.amdhsa_inst_pref_size 8
		.amdhsa_round_robin_scheduling 0
		.amdhsa_exception_fp_ieee_invalid_op 0
		.amdhsa_exception_fp_denorm_src 0
		.amdhsa_exception_fp_ieee_div_zero 0
		.amdhsa_exception_fp_ieee_overflow 0
		.amdhsa_exception_fp_ieee_underflow 0
		.amdhsa_exception_fp_ieee_inexact 0
		.amdhsa_exception_int_div_zero 0
	.end_amdhsa_kernel
	.section	.text._ZL20rocblas_trmvn_kernelILi64ELi16ELb1ELb1EPK19rocblas_complex_numIfEPS1_S4_EviT3_lllT4_lllT5_li,"axG",@progbits,_ZL20rocblas_trmvn_kernelILi64ELi16ELb1ELb1EPK19rocblas_complex_numIfEPS1_S4_EviT3_lllT4_lllT5_li,comdat
.Lfunc_end30:
	.size	_ZL20rocblas_trmvn_kernelILi64ELi16ELb1ELb1EPK19rocblas_complex_numIfEPS1_S4_EviT3_lllT4_lllT5_li, .Lfunc_end30-_ZL20rocblas_trmvn_kernelILi64ELi16ELb1ELb1EPK19rocblas_complex_numIfEPS1_S4_EviT3_lllT4_lllT5_li
                                        ; -- End function
	.set _ZL20rocblas_trmvn_kernelILi64ELi16ELb1ELb1EPK19rocblas_complex_numIfEPS1_S4_EviT3_lllT4_lllT5_li.num_vgpr, 28
	.set _ZL20rocblas_trmvn_kernelILi64ELi16ELb1ELb1EPK19rocblas_complex_numIfEPS1_S4_EviT3_lllT4_lllT5_li.num_agpr, 0
	.set _ZL20rocblas_trmvn_kernelILi64ELi16ELb1ELb1EPK19rocblas_complex_numIfEPS1_S4_EviT3_lllT4_lllT5_li.numbered_sgpr, 30
	.set _ZL20rocblas_trmvn_kernelILi64ELi16ELb1ELb1EPK19rocblas_complex_numIfEPS1_S4_EviT3_lllT4_lllT5_li.num_named_barrier, 0
	.set _ZL20rocblas_trmvn_kernelILi64ELi16ELb1ELb1EPK19rocblas_complex_numIfEPS1_S4_EviT3_lllT4_lllT5_li.private_seg_size, 0
	.set _ZL20rocblas_trmvn_kernelILi64ELi16ELb1ELb1EPK19rocblas_complex_numIfEPS1_S4_EviT3_lllT4_lllT5_li.uses_vcc, 1
	.set _ZL20rocblas_trmvn_kernelILi64ELi16ELb1ELb1EPK19rocblas_complex_numIfEPS1_S4_EviT3_lllT4_lllT5_li.uses_flat_scratch, 0
	.set _ZL20rocblas_trmvn_kernelILi64ELi16ELb1ELb1EPK19rocblas_complex_numIfEPS1_S4_EviT3_lllT4_lllT5_li.has_dyn_sized_stack, 0
	.set _ZL20rocblas_trmvn_kernelILi64ELi16ELb1ELb1EPK19rocblas_complex_numIfEPS1_S4_EviT3_lllT4_lllT5_li.has_recursion, 0
	.set _ZL20rocblas_trmvn_kernelILi64ELi16ELb1ELb1EPK19rocblas_complex_numIfEPS1_S4_EviT3_lllT4_lllT5_li.has_indirect_call, 0
	.section	.AMDGPU.csdata,"",@progbits
; Kernel info:
; codeLenInByte = 964
; TotalNumSgprs: 32
; NumVgprs: 28
; ScratchSize: 0
; MemoryBound: 0
; FloatMode: 240
; IeeeMode: 1
; LDSByteSize: 8192 bytes/workgroup (compile time only)
; SGPRBlocks: 0
; VGPRBlocks: 1
; NumSGPRsForWavesPerEU: 32
; NumVGPRsForWavesPerEU: 28
; NamedBarCnt: 0
; Occupancy: 16
; WaveLimiterHint : 0
; COMPUTE_PGM_RSRC2:SCRATCH_EN: 0
; COMPUTE_PGM_RSRC2:USER_SGPR: 2
; COMPUTE_PGM_RSRC2:TRAP_HANDLER: 0
; COMPUTE_PGM_RSRC2:TGID_X_EN: 1
; COMPUTE_PGM_RSRC2:TGID_Y_EN: 0
; COMPUTE_PGM_RSRC2:TGID_Z_EN: 1
; COMPUTE_PGM_RSRC2:TIDIG_COMP_CNT: 1
	.section	.text._ZL20rocblas_trmvt_kernelILi512ELb1ELb0ELb1EPK19rocblas_complex_numIfEPS1_S4_EviT3_lllT4_lllT5_li,"axG",@progbits,_ZL20rocblas_trmvt_kernelILi512ELb1ELb0ELb1EPK19rocblas_complex_numIfEPS1_S4_EviT3_lllT4_lllT5_li,comdat
	.globl	_ZL20rocblas_trmvt_kernelILi512ELb1ELb0ELb1EPK19rocblas_complex_numIfEPS1_S4_EviT3_lllT4_lllT5_li ; -- Begin function _ZL20rocblas_trmvt_kernelILi512ELb1ELb0ELb1EPK19rocblas_complex_numIfEPS1_S4_EviT3_lllT4_lllT5_li
	.p2align	8
	.type	_ZL20rocblas_trmvt_kernelILi512ELb1ELb0ELb1EPK19rocblas_complex_numIfEPS1_S4_EviT3_lllT4_lllT5_li,@function
_ZL20rocblas_trmvt_kernelILi512ELb1ELb0ELb1EPK19rocblas_complex_numIfEPS1_S4_EviT3_lllT4_lllT5_li: ; @_ZL20rocblas_trmvt_kernelILi512ELb1ELb0ELb1EPK19rocblas_complex_numIfEPS1_S4_EviT3_lllT4_lllT5_li
; %bb.0:
	s_load_b32 s26, s[0:1], 0x58
	s_bfe_u32 s2, ttmp6, 0x40014
	s_lshr_b32 s3, ttmp7, 16
	s_add_co_i32 s2, s2, 1
	s_bfe_u32 s5, ttmp6, 0x40008
	s_mul_i32 s4, s3, s2
	s_getreg_b32 s2, hwreg(HW_REG_IB_STS2, 6, 4)
	s_add_co_i32 s5, s5, s4
	s_cmp_eq_u32 s2, 0
	s_mov_b32 s25, 0
	s_cselect_b32 s24, s3, s5
	s_wait_kmcnt 0x0
	s_cmp_ge_u32 s24, s26
	s_cbranch_scc1 .LBB31_21
; %bb.1:
	s_clause 0x2
	s_load_b512 s[4:19], s[0:1], 0x8
	s_load_b32 s27, s[0:1], 0x0
	s_load_b128 s[20:23], s[0:1], 0x48
	v_dual_mov_b32 v3, 0 :: v_dual_bitop2_b32 v2, 31, v0 bitop3:0x40
	s_wait_xcnt 0x0
	s_bfe_u32 s0, ttmp6, 0x4000c
	v_mbcnt_lo_u32_b32 v4, -1, 0
	s_add_co_i32 s1, s0, 1
	v_dual_mov_b32 v1, v3 :: v_dual_lshlrev_b32 v16, 3, v2
	s_and_b32 s3, ttmp6, 15
	s_mul_i32 s28, ttmp9, s1
	v_cmp_gt_u32_e64 s1, 24, v4
	s_add_co_i32 s3, s3, s28
	v_lshl_or_b32 v17, v4, 2, 64
	v_cmp_gt_u32_e64 s0, 32, v0
	v_cmp_eq_u32_e32 vcc_lo, 0, v0
	v_cndmask_b32_e64 v5, 0, 8, s1
	s_wait_kmcnt 0x0
	v_mul_u64_e32 v[8:9], s[16:17], v[0:1]
	s_lshl_b64 s[28:29], s[14:15], 3
	s_cmp_eq_u32 s2, 0
	v_cmp_gt_u32_e64 s2, 28, v4
	v_cmp_gt_i32_e64 s1, s27, v0
	s_cselect_b32 s14, ttmp9, s3
	s_lshl_b64 s[6:7], s[6:7], 3
	s_ashr_i32 s15, s14, 31
	v_cndmask_b32_e64 v7, 0, 4, s2
	v_cmp_gt_u32_e64 s2, 30, v4
	v_cndmask_b32_e64 v6, 0, v0, s1
	s_mul_u64 s[8:9], s[8:9], s[14:15]
	v_add_lshl_u32 v1, v5, v4, 2
	s_lshl_b64 s[8:9], s[8:9], 3
	v_cndmask_b32_e64 v10, 0, 2, s2
	v_cmp_ne_u32_e64 s2, 31, v4
	v_lshrrev_b32_e32 v5, 2, v0
	s_add_nc_u64 s[6:7], s[8:9], s[6:7]
	s_add_nc_u64 s[12:13], s[12:13], s[28:29]
	;; [unrolled: 1-line block ×3, first 2 shown]
	v_add_co_ci_u32_e64 v11, null, 0, v4, s2
	v_cmp_eq_u32_e64 s2, 0, v2
	v_lshlrev_b32_e32 v2, 3, v6
	v_add_lshl_u32 v18, v7, v4, 2
	s_delay_alu instid0(VALU_DEP_4)
	v_lshlrev_b32_e32 v20, 2, v11
	v_add_lshl_u32 v19, v10, v4, 2
	v_and_b32_e32 v21, 0x78, v5
	v_add_nc_u64_e32 v[4:5], s[4:5], v[2:3]
	v_mov_b64_e32 v[6:7], 0
	v_cmp_gt_u32_e64 s3, 16, v0
	s_mul_u64 s[28:29], s[16:17], s[14:15]
	v_lshl_add_u64 v[8:9], v[8:9], 3, s[12:13]
	s_lshl_b64 s[8:9], s[14:15], 3
	s_lshl_b64 s[16:17], s[16:17], 12
	s_add_nc_u64 s[6:7], s[20:21], s[8:9]
	s_lshl_b64 s[8:9], s[10:11], 3
	s_lshl_b64 s[10:11], s[18:19], 3
	;; [unrolled: 1-line block ×3, first 2 shown]
	s_branch .LBB31_3
.LBB31_2:                               ;   in Loop: Header=BB31_3 Depth=1
	s_wait_xcnt 0x0
	s_or_b32 exec_lo, exec_lo, s4
	s_add_co_i32 s24, s24, 0x10000
	s_delay_alu instid0(SALU_CYCLE_1)
	s_cmp_lt_u32 s24, s26
	s_cbranch_scc0 .LBB31_21
.LBB31_3:                               ; =>This Loop Header: Depth=1
                                        ;     Child Loop BB31_15 Depth 2
	s_wait_dscnt 0x0
	v_mov_b64_e32 v[10:11], 0
	s_and_saveexec_b32 s4, vcc_lo
	s_cbranch_execnz .LBB31_12
; %bb.4:                                ;   in Loop: Header=BB31_3 Depth=1
	s_or_b32 exec_lo, exec_lo, s4
	s_and_saveexec_b32 s5, s1
	s_cbranch_execnz .LBB31_13
.LBB31_5:                               ;   in Loop: Header=BB31_3 Depth=1
	s_or_b32 exec_lo, exec_lo, s5
	s_and_saveexec_b32 s4, s0
.LBB31_6:                               ;   in Loop: Header=BB31_3 Depth=1
	ds_store_b64 v16, v[6:7]
.LBB31_7:                               ;   in Loop: Header=BB31_3 Depth=1
	s_or_b32 exec_lo, exec_lo, s4
	ds_bpermute_b32 v12, v17, v10
	ds_bpermute_b32 v13, v17, v11
	s_wait_dscnt 0x0
	s_barrier_signal -1
	s_barrier_wait -1
	v_pk_add_f32 v[10:11], v[10:11], v[12:13]
	ds_bpermute_b32 v12, v1, v10
	ds_bpermute_b32 v13, v1, v11
	s_wait_dscnt 0x0
	v_pk_add_f32 v[10:11], v[10:11], v[12:13]
	ds_bpermute_b32 v12, v18, v10
	ds_bpermute_b32 v13, v18, v11
	s_wait_dscnt 0x0
	;; [unrolled: 4-line block ×3, first 2 shown]
	v_pk_add_f32 v[10:11], v[10:11], v[12:13]
	ds_bpermute_b32 v12, v20, v10
	ds_bpermute_b32 v13, v20, v11
	s_and_saveexec_b32 s4, s2
	s_cbranch_execz .LBB31_9
; %bb.8:                                ;   in Loop: Header=BB31_3 Depth=1
	s_wait_dscnt 0x0
	v_pk_add_f32 v[10:11], v[10:11], v[12:13]
	ds_store_b64 v21, v[10:11]
.LBB31_9:                               ;   in Loop: Header=BB31_3 Depth=1
	s_or_b32 exec_lo, exec_lo, s4
	v_mov_b64_e32 v[10:11], 0
	s_wait_dscnt 0x0
	s_barrier_signal -1
	s_barrier_wait -1
	s_and_saveexec_b32 s4, s3
	s_cbranch_execnz .LBB31_17
; %bb.10:                               ;   in Loop: Header=BB31_3 Depth=1
	s_or_b32 exec_lo, exec_lo, s4
	s_and_saveexec_b32 s4, s0
	s_cbranch_execnz .LBB31_18
.LBB31_11:                              ;   in Loop: Header=BB31_3 Depth=1
	s_or_b32 exec_lo, exec_lo, s4
	s_and_saveexec_b32 s4, vcc_lo
	s_cbranch_execz .LBB31_2
	s_branch .LBB31_19
.LBB31_12:                              ;   in Loop: Header=BB31_3 Depth=1
	s_mul_u64 s[28:29], s[18:19], s[24:25]
	s_delay_alu instid0(SALU_CYCLE_1) | instskip(NEXT) | instid1(SALU_CYCLE_1)
	s_lshl_b64 s[28:29], s[28:29], 3
	s_add_nc_u64 s[28:29], s[12:13], s[28:29]
	s_delay_alu instid0(SALU_CYCLE_1)
	s_add_nc_u64 s[28:29], s[28:29], s[20:21]
	global_load_b64 v[10:11], v3, s[28:29]
	s_wait_loadcnt 0x0
	v_pk_add_f32 v[10:11], v[10:11], 0 op_sel_hi:[1,0]
	s_wait_xcnt 0x0
	s_or_b32 exec_lo, exec_lo, s4
	s_and_saveexec_b32 s5, s1
	s_cbranch_execz .LBB31_5
.LBB31_13:                              ;   in Loop: Header=BB31_3 Depth=1
	v_mad_nc_u64_u32 v[12:13], s8, s24, v[4:5]
	v_mad_nc_u64_u32 v[14:15], s10, s24, v[8:9]
	v_mov_b32_e32 v2, v0
	s_mov_b32 s15, 0
	s_delay_alu instid0(VALU_DEP_3) | instskip(NEXT) | instid1(VALU_DEP_3)
	v_mad_u32 v13, s9, s24, v13
	v_mad_u32 v15, s11, s24, v15
	s_branch .LBB31_15
.LBB31_14:                              ;   in Loop: Header=BB31_15 Depth=2
	s_wait_xcnt 0x0
	s_or_b32 exec_lo, exec_lo, s28
	v_add_nc_u32_e32 v2, 0x200, v2
	s_delay_alu instid0(VALU_DEP_4) | instskip(NEXT) | instid1(VALU_DEP_4)
	v_add_nc_u64_e32 v[12:13], 0x1000, v[12:13]
	v_add_nc_u64_e32 v[14:15], s[16:17], v[14:15]
	s_delay_alu instid0(VALU_DEP_3) | instskip(SKIP_1) | instid1(SALU_CYCLE_1)
	v_cmp_le_i32_e64 s4, s27, v2
	s_or_b32 s15, s4, s15
	s_and_not1_b32 exec_lo, exec_lo, s15
	s_cbranch_execz .LBB31_20
.LBB31_15:                              ;   Parent Loop BB31_3 Depth=1
                                        ; =>  This Inner Loop Header: Depth=2
	s_mov_b32 s28, exec_lo
	v_cmpx_lt_i32_e64 s14, v2
	s_cbranch_execz .LBB31_14
; %bb.16:                               ;   in Loop: Header=BB31_15 Depth=2
	global_load_b64 v[22:23], v[12:13], off
	global_load_b64 v[24:25], v[14:15], off
	s_wait_loadcnt 0x0
	v_pk_mul_f32 v[26:27], v[24:25], v[22:23] op_sel:[1,1] op_sel_hi:[0,1]
	s_delay_alu instid0(VALU_DEP_1) | instskip(SKIP_1) | instid1(VALU_DEP_2)
	v_pk_fma_f32 v[28:29], v[24:25], v[22:23], v[26:27] op_sel_hi:[1,0,1]
	v_pk_fma_f32 v[22:23], v[24:25], v[22:23], v[26:27] neg_lo:[0,0,1] neg_hi:[0,0,1]
	v_mov_b32_e32 v23, v29
	s_delay_alu instid0(VALU_DEP_1)
	v_pk_add_f32 v[10:11], v[10:11], v[22:23]
	s_branch .LBB31_14
.LBB31_17:                              ;   in Loop: Header=BB31_3 Depth=1
	ds_load_b64 v[10:11], v16
	s_or_b32 exec_lo, exec_lo, s4
	s_and_saveexec_b32 s4, s0
	s_cbranch_execz .LBB31_11
.LBB31_18:                              ;   in Loop: Header=BB31_3 Depth=1
	s_wait_dscnt 0x0
	ds_bpermute_b32 v12, v1, v10
	ds_bpermute_b32 v13, v1, v11
	s_wait_dscnt 0x0
	v_pk_add_f32 v[10:11], v[10:11], v[12:13]
	ds_bpermute_b32 v12, v18, v10
	ds_bpermute_b32 v13, v18, v11
	s_wait_dscnt 0x0
	v_pk_add_f32 v[10:11], v[10:11], v[12:13]
	;; [unrolled: 4-line block ×4, first 2 shown]
	s_or_b32 exec_lo, exec_lo, s4
	s_and_saveexec_b32 s4, vcc_lo
	s_cbranch_execz .LBB31_2
.LBB31_19:                              ;   in Loop: Header=BB31_3 Depth=1
	s_mul_u64 s[28:29], s[22:23], s[24:25]
	s_delay_alu instid0(SALU_CYCLE_1) | instskip(NEXT) | instid1(SALU_CYCLE_1)
	s_lshl_b64 s[28:29], s[28:29], 3
	s_add_nc_u64 s[28:29], s[6:7], s[28:29]
	s_wait_dscnt 0x0
	global_store_b64 v3, v[10:11], s[28:29]
	s_branch .LBB31_2
.LBB31_20:                              ;   in Loop: Header=BB31_3 Depth=1
	s_or_b32 exec_lo, exec_lo, s15
	s_delay_alu instid0(SALU_CYCLE_1)
	s_or_b32 exec_lo, exec_lo, s5
	s_and_saveexec_b32 s4, s0
	s_cbranch_execnz .LBB31_6
	s_branch .LBB31_7
.LBB31_21:
	s_endpgm
	.section	.rodata,"a",@progbits
	.p2align	6, 0x0
	.amdhsa_kernel _ZL20rocblas_trmvt_kernelILi512ELb1ELb0ELb1EPK19rocblas_complex_numIfEPS1_S4_EviT3_lllT4_lllT5_li
		.amdhsa_group_segment_fixed_size 256
		.amdhsa_private_segment_fixed_size 0
		.amdhsa_kernarg_size 92
		.amdhsa_user_sgpr_count 2
		.amdhsa_user_sgpr_dispatch_ptr 0
		.amdhsa_user_sgpr_queue_ptr 0
		.amdhsa_user_sgpr_kernarg_segment_ptr 1
		.amdhsa_user_sgpr_dispatch_id 0
		.amdhsa_user_sgpr_kernarg_preload_length 0
		.amdhsa_user_sgpr_kernarg_preload_offset 0
		.amdhsa_user_sgpr_private_segment_size 0
		.amdhsa_wavefront_size32 1
		.amdhsa_uses_dynamic_stack 0
		.amdhsa_enable_private_segment 0
		.amdhsa_system_sgpr_workgroup_id_x 1
		.amdhsa_system_sgpr_workgroup_id_y 0
		.amdhsa_system_sgpr_workgroup_id_z 1
		.amdhsa_system_sgpr_workgroup_info 0
		.amdhsa_system_vgpr_workitem_id 0
		.amdhsa_next_free_vgpr 30
		.amdhsa_next_free_sgpr 30
		.amdhsa_named_barrier_count 0
		.amdhsa_reserve_vcc 1
		.amdhsa_float_round_mode_32 0
		.amdhsa_float_round_mode_16_64 0
		.amdhsa_float_denorm_mode_32 3
		.amdhsa_float_denorm_mode_16_64 3
		.amdhsa_fp16_overflow 0
		.amdhsa_memory_ordered 1
		.amdhsa_forward_progress 1
		.amdhsa_inst_pref_size 10
		.amdhsa_round_robin_scheduling 0
		.amdhsa_exception_fp_ieee_invalid_op 0
		.amdhsa_exception_fp_denorm_src 0
		.amdhsa_exception_fp_ieee_div_zero 0
		.amdhsa_exception_fp_ieee_overflow 0
		.amdhsa_exception_fp_ieee_underflow 0
		.amdhsa_exception_fp_ieee_inexact 0
		.amdhsa_exception_int_div_zero 0
	.end_amdhsa_kernel
	.section	.text._ZL20rocblas_trmvt_kernelILi512ELb1ELb0ELb1EPK19rocblas_complex_numIfEPS1_S4_EviT3_lllT4_lllT5_li,"axG",@progbits,_ZL20rocblas_trmvt_kernelILi512ELb1ELb0ELb1EPK19rocblas_complex_numIfEPS1_S4_EviT3_lllT4_lllT5_li,comdat
.Lfunc_end31:
	.size	_ZL20rocblas_trmvt_kernelILi512ELb1ELb0ELb1EPK19rocblas_complex_numIfEPS1_S4_EviT3_lllT4_lllT5_li, .Lfunc_end31-_ZL20rocblas_trmvt_kernelILi512ELb1ELb0ELb1EPK19rocblas_complex_numIfEPS1_S4_EviT3_lllT4_lllT5_li
                                        ; -- End function
	.set _ZL20rocblas_trmvt_kernelILi512ELb1ELb0ELb1EPK19rocblas_complex_numIfEPS1_S4_EviT3_lllT4_lllT5_li.num_vgpr, 30
	.set _ZL20rocblas_trmvt_kernelILi512ELb1ELb0ELb1EPK19rocblas_complex_numIfEPS1_S4_EviT3_lllT4_lllT5_li.num_agpr, 0
	.set _ZL20rocblas_trmvt_kernelILi512ELb1ELb0ELb1EPK19rocblas_complex_numIfEPS1_S4_EviT3_lllT4_lllT5_li.numbered_sgpr, 30
	.set _ZL20rocblas_trmvt_kernelILi512ELb1ELb0ELb1EPK19rocblas_complex_numIfEPS1_S4_EviT3_lllT4_lllT5_li.num_named_barrier, 0
	.set _ZL20rocblas_trmvt_kernelILi512ELb1ELb0ELb1EPK19rocblas_complex_numIfEPS1_S4_EviT3_lllT4_lllT5_li.private_seg_size, 0
	.set _ZL20rocblas_trmvt_kernelILi512ELb1ELb0ELb1EPK19rocblas_complex_numIfEPS1_S4_EviT3_lllT4_lllT5_li.uses_vcc, 1
	.set _ZL20rocblas_trmvt_kernelILi512ELb1ELb0ELb1EPK19rocblas_complex_numIfEPS1_S4_EviT3_lllT4_lllT5_li.uses_flat_scratch, 0
	.set _ZL20rocblas_trmvt_kernelILi512ELb1ELb0ELb1EPK19rocblas_complex_numIfEPS1_S4_EviT3_lllT4_lllT5_li.has_dyn_sized_stack, 0
	.set _ZL20rocblas_trmvt_kernelILi512ELb1ELb0ELb1EPK19rocblas_complex_numIfEPS1_S4_EviT3_lllT4_lllT5_li.has_recursion, 0
	.set _ZL20rocblas_trmvt_kernelILi512ELb1ELb0ELb1EPK19rocblas_complex_numIfEPS1_S4_EviT3_lllT4_lllT5_li.has_indirect_call, 0
	.section	.AMDGPU.csdata,"",@progbits
; Kernel info:
; codeLenInByte = 1180
; TotalNumSgprs: 32
; NumVgprs: 30
; ScratchSize: 0
; MemoryBound: 0
; FloatMode: 240
; IeeeMode: 1
; LDSByteSize: 256 bytes/workgroup (compile time only)
; SGPRBlocks: 0
; VGPRBlocks: 1
; NumSGPRsForWavesPerEU: 32
; NumVGPRsForWavesPerEU: 30
; NamedBarCnt: 0
; Occupancy: 16
; WaveLimiterHint : 0
; COMPUTE_PGM_RSRC2:SCRATCH_EN: 0
; COMPUTE_PGM_RSRC2:USER_SGPR: 2
; COMPUTE_PGM_RSRC2:TRAP_HANDLER: 0
; COMPUTE_PGM_RSRC2:TGID_X_EN: 1
; COMPUTE_PGM_RSRC2:TGID_Y_EN: 0
; COMPUTE_PGM_RSRC2:TGID_Z_EN: 1
; COMPUTE_PGM_RSRC2:TIDIG_COMP_CNT: 0
	.section	.text._ZL20rocblas_trmvt_kernelILi512ELb1ELb1ELb1EPK19rocblas_complex_numIfEPS1_S4_EviT3_lllT4_lllT5_li,"axG",@progbits,_ZL20rocblas_trmvt_kernelILi512ELb1ELb1ELb1EPK19rocblas_complex_numIfEPS1_S4_EviT3_lllT4_lllT5_li,comdat
	.globl	_ZL20rocblas_trmvt_kernelILi512ELb1ELb1ELb1EPK19rocblas_complex_numIfEPS1_S4_EviT3_lllT4_lllT5_li ; -- Begin function _ZL20rocblas_trmvt_kernelILi512ELb1ELb1ELb1EPK19rocblas_complex_numIfEPS1_S4_EviT3_lllT4_lllT5_li
	.p2align	8
	.type	_ZL20rocblas_trmvt_kernelILi512ELb1ELb1ELb1EPK19rocblas_complex_numIfEPS1_S4_EviT3_lllT4_lllT5_li,@function
_ZL20rocblas_trmvt_kernelILi512ELb1ELb1ELb1EPK19rocblas_complex_numIfEPS1_S4_EviT3_lllT4_lllT5_li: ; @_ZL20rocblas_trmvt_kernelILi512ELb1ELb1ELb1EPK19rocblas_complex_numIfEPS1_S4_EviT3_lllT4_lllT5_li
; %bb.0:
	s_load_b32 s26, s[0:1], 0x58
	s_bfe_u32 s2, ttmp6, 0x40014
	s_lshr_b32 s3, ttmp7, 16
	s_add_co_i32 s2, s2, 1
	s_bfe_u32 s5, ttmp6, 0x40008
	s_mul_i32 s4, s3, s2
	s_getreg_b32 s2, hwreg(HW_REG_IB_STS2, 6, 4)
	s_add_co_i32 s5, s5, s4
	s_cmp_eq_u32 s2, 0
	s_mov_b32 s25, 0
	s_cselect_b32 s24, s3, s5
	s_wait_kmcnt 0x0
	s_cmp_ge_u32 s24, s26
	s_cbranch_scc1 .LBB32_21
; %bb.1:
	s_clause 0x2
	s_load_b512 s[4:19], s[0:1], 0x8
	s_load_b32 s27, s[0:1], 0x0
	s_load_b128 s[20:23], s[0:1], 0x48
	v_mbcnt_lo_u32_b32 v4, -1, 0
	s_wait_xcnt 0x0
	s_bfe_u32 s1, ttmp6, 0x4000c
	v_dual_mov_b32 v3, 0 :: v_dual_bitop2_b32 v6, 31, v0 bitop3:0x40
	s_add_co_i32 s1, s1, 1
	s_and_b32 s3, ttmp6, 15
	s_mul_i32 s28, ttmp9, s1
	v_cmp_gt_u32_e64 s1, 24, v4
	v_dual_mov_b32 v1, v3 :: v_dual_lshlrev_b32 v16, 3, v6
	s_add_co_i32 s3, s3, s28
	v_cmp_gt_u32_e64 s0, 32, v0
	v_cndmask_b32_e64 v2, 0, 8, s1
	v_cmp_gt_u32_e64 s1, 28, v4
	v_cmp_eq_u32_e32 vcc_lo, 0, v0
	s_delay_alu instid0(VALU_DEP_3)
	v_add_lshl_u32 v17, v2, v4, 2
	s_wait_kmcnt 0x0
	v_mul_u64_e32 v[8:9], s[16:17], v[0:1]
	s_lshl_b64 s[28:29], s[14:15], 3
	v_cndmask_b32_e64 v5, 0, 4, s1
	s_cmp_eq_u32 s2, 0
	v_cmp_gt_u32_e64 s2, 30, v4
	v_cmp_gt_i32_e64 s1, s27, v0
	s_cselect_b32 s14, ttmp9, s3
	v_add_lshl_u32 v18, v5, v4, 2
	s_ashr_i32 s15, s14, 31
	v_cndmask_b32_e64 v5, 0, 2, s2
	v_cmp_ne_u32_e64 s2, 31, v4
	s_mul_u64 s[8:9], s[8:9], s[14:15]
	s_lshl_b64 s[6:7], s[6:7], 3
	v_lshl_or_b32 v1, v4, 2, 64
	v_add_lshl_u32 v19, v5, v4, 2
	v_add_co_ci_u32_e64 v10, null, 0, v4, s2
	v_cndmask_b32_e64 v7, 0, v0, s1
	s_lshl_b64 s[2:3], s[8:9], 3
	s_add_nc_u64 s[12:13], s[12:13], s[28:29]
	s_add_nc_u64 s[2:3], s[2:3], s[6:7]
	s_mul_u64 s[28:29], s[16:17], s[14:15]
	v_dual_lshlrev_b32 v2, 3, v7 :: v_dual_lshrrev_b32 v7, 2, v0
	s_add_nc_u64 s[2:3], s[4:5], s[2:3]
	s_lshl_b64 s[4:5], s[14:15], 3
	s_lshl_b64 s[8:9], s[10:11], 3
	s_delay_alu instid0(VALU_DEP_1)
	v_add_nc_u64_e32 v[4:5], s[2:3], v[2:3]
	v_cmp_eq_u32_e64 s2, 0, v6
	v_and_b32_e32 v20, 0x78, v7
	v_mov_b64_e32 v[6:7], 0
	v_lshlrev_b32_e32 v2, 2, v10
	v_cmp_gt_u32_e64 s3, 16, v0
	v_lshl_add_u64 v[8:9], v[8:9], 3, s[12:13]
	v_add_nc_u64_e32 v[4:5], 4, v[4:5]
	s_add_nc_u64 s[6:7], s[20:21], s[4:5]
	s_lshl_b64 s[10:11], s[18:19], 3
	s_lshl_b64 s[16:17], s[16:17], 12
	;; [unrolled: 1-line block ×3, first 2 shown]
	s_branch .LBB32_3
.LBB32_2:                               ;   in Loop: Header=BB32_3 Depth=1
	s_wait_xcnt 0x0
	s_or_b32 exec_lo, exec_lo, s4
	s_add_co_i32 s24, s24, 0x10000
	s_delay_alu instid0(SALU_CYCLE_1)
	s_cmp_lt_u32 s24, s26
	s_cbranch_scc0 .LBB32_21
.LBB32_3:                               ; =>This Loop Header: Depth=1
                                        ;     Child Loop BB32_15 Depth 2
	s_wait_dscnt 0x0
	v_mov_b64_e32 v[10:11], 0
	s_and_saveexec_b32 s4, vcc_lo
	s_cbranch_execnz .LBB32_12
; %bb.4:                                ;   in Loop: Header=BB32_3 Depth=1
	s_or_b32 exec_lo, exec_lo, s4
	s_and_saveexec_b32 s5, s1
	s_cbranch_execnz .LBB32_13
.LBB32_5:                               ;   in Loop: Header=BB32_3 Depth=1
	s_or_b32 exec_lo, exec_lo, s5
	s_and_saveexec_b32 s4, s0
.LBB32_6:                               ;   in Loop: Header=BB32_3 Depth=1
	ds_store_b64 v16, v[6:7]
.LBB32_7:                               ;   in Loop: Header=BB32_3 Depth=1
	s_or_b32 exec_lo, exec_lo, s4
	ds_bpermute_b32 v12, v1, v10
	ds_bpermute_b32 v13, v1, v11
	s_wait_dscnt 0x0
	s_barrier_signal -1
	s_barrier_wait -1
	v_pk_add_f32 v[10:11], v[10:11], v[12:13]
	ds_bpermute_b32 v12, v17, v10
	ds_bpermute_b32 v13, v17, v11
	s_wait_dscnt 0x0
	v_pk_add_f32 v[10:11], v[10:11], v[12:13]
	ds_bpermute_b32 v12, v18, v10
	ds_bpermute_b32 v13, v18, v11
	s_wait_dscnt 0x0
	;; [unrolled: 4-line block ×3, first 2 shown]
	v_pk_add_f32 v[10:11], v[10:11], v[12:13]
	ds_bpermute_b32 v12, v2, v10
	ds_bpermute_b32 v13, v2, v11
	s_and_saveexec_b32 s4, s2
	s_cbranch_execz .LBB32_9
; %bb.8:                                ;   in Loop: Header=BB32_3 Depth=1
	s_wait_dscnt 0x0
	v_pk_add_f32 v[10:11], v[10:11], v[12:13]
	ds_store_b64 v20, v[10:11]
.LBB32_9:                               ;   in Loop: Header=BB32_3 Depth=1
	s_or_b32 exec_lo, exec_lo, s4
	v_mov_b64_e32 v[10:11], 0
	s_wait_dscnt 0x0
	s_barrier_signal -1
	s_barrier_wait -1
	s_and_saveexec_b32 s4, s3
	s_cbranch_execnz .LBB32_17
; %bb.10:                               ;   in Loop: Header=BB32_3 Depth=1
	s_or_b32 exec_lo, exec_lo, s4
	s_and_saveexec_b32 s4, s0
	s_cbranch_execnz .LBB32_18
.LBB32_11:                              ;   in Loop: Header=BB32_3 Depth=1
	s_or_b32 exec_lo, exec_lo, s4
	s_and_saveexec_b32 s4, vcc_lo
	s_cbranch_execz .LBB32_2
	s_branch .LBB32_19
.LBB32_12:                              ;   in Loop: Header=BB32_3 Depth=1
	s_mul_u64 s[28:29], s[18:19], s[24:25]
	s_delay_alu instid0(SALU_CYCLE_1) | instskip(NEXT) | instid1(SALU_CYCLE_1)
	s_lshl_b64 s[28:29], s[28:29], 3
	s_add_nc_u64 s[28:29], s[12:13], s[28:29]
	s_delay_alu instid0(SALU_CYCLE_1)
	s_add_nc_u64 s[28:29], s[28:29], s[20:21]
	global_load_b64 v[10:11], v3, s[28:29]
	s_wait_loadcnt 0x0
	v_pk_add_f32 v[10:11], v[10:11], 0 op_sel_hi:[1,0]
	s_wait_xcnt 0x0
	s_or_b32 exec_lo, exec_lo, s4
	s_and_saveexec_b32 s5, s1
	s_cbranch_execz .LBB32_5
.LBB32_13:                              ;   in Loop: Header=BB32_3 Depth=1
	v_mad_nc_u64_u32 v[12:13], s8, s24, v[4:5]
	v_mad_nc_u64_u32 v[14:15], s10, s24, v[8:9]
	v_mov_b32_e32 v21, v0
	s_mov_b32 s15, 0
	s_delay_alu instid0(VALU_DEP_3) | instskip(NEXT) | instid1(VALU_DEP_3)
	v_mad_u32 v13, s9, s24, v13
	v_mad_u32 v15, s11, s24, v15
	s_branch .LBB32_15
.LBB32_14:                              ;   in Loop: Header=BB32_15 Depth=2
	s_wait_xcnt 0x0
	s_or_b32 exec_lo, exec_lo, s28
	v_add_nc_u32_e32 v21, 0x200, v21
	s_delay_alu instid0(VALU_DEP_4) | instskip(NEXT) | instid1(VALU_DEP_4)
	v_add_nc_u64_e32 v[12:13], 0x1000, v[12:13]
	v_add_nc_u64_e32 v[14:15], s[16:17], v[14:15]
	s_delay_alu instid0(VALU_DEP_3) | instskip(SKIP_1) | instid1(SALU_CYCLE_1)
	v_cmp_le_i32_e64 s4, s27, v21
	s_or_b32 s15, s4, s15
	s_and_not1_b32 exec_lo, exec_lo, s15
	s_cbranch_execz .LBB32_20
.LBB32_15:                              ;   Parent Loop BB32_3 Depth=1
                                        ; =>  This Inner Loop Header: Depth=2
	s_mov_b32 s28, exec_lo
	v_cmpx_lt_i32_e64 s14, v21
	s_cbranch_execz .LBB32_14
; %bb.16:                               ;   in Loop: Header=BB32_15 Depth=2
	global_load_b64 v[22:23], v[12:13], off offset:-4
	global_load_b64 v[24:25], v[14:15], off
	s_wait_loadcnt 0x0
	v_pk_mul_f32 v[26:27], v[22:23], v[24:25] op_sel:[1,1] op_sel_hi:[1,0]
	s_delay_alu instid0(VALU_DEP_1) | instskip(SKIP_1) | instid1(VALU_DEP_2)
	v_pk_fma_f32 v[28:29], v[22:23], v[24:25], v[26:27] op_sel_hi:[0,1,1] neg_lo:[0,0,1] neg_hi:[0,0,1]
	v_pk_fma_f32 v[22:23], v[22:23], v[24:25], v[26:27]
	v_mov_b32_e32 v23, v29
	s_delay_alu instid0(VALU_DEP_1)
	v_pk_add_f32 v[10:11], v[10:11], v[22:23]
	s_branch .LBB32_14
.LBB32_17:                              ;   in Loop: Header=BB32_3 Depth=1
	ds_load_b64 v[10:11], v16
	s_or_b32 exec_lo, exec_lo, s4
	s_and_saveexec_b32 s4, s0
	s_cbranch_execz .LBB32_11
.LBB32_18:                              ;   in Loop: Header=BB32_3 Depth=1
	s_wait_dscnt 0x0
	ds_bpermute_b32 v12, v17, v10
	ds_bpermute_b32 v13, v17, v11
	s_wait_dscnt 0x0
	v_pk_add_f32 v[10:11], v[10:11], v[12:13]
	ds_bpermute_b32 v12, v18, v10
	ds_bpermute_b32 v13, v18, v11
	s_wait_dscnt 0x0
	v_pk_add_f32 v[10:11], v[10:11], v[12:13]
	;; [unrolled: 4-line block ×4, first 2 shown]
	s_or_b32 exec_lo, exec_lo, s4
	s_and_saveexec_b32 s4, vcc_lo
	s_cbranch_execz .LBB32_2
.LBB32_19:                              ;   in Loop: Header=BB32_3 Depth=1
	s_mul_u64 s[28:29], s[22:23], s[24:25]
	s_delay_alu instid0(SALU_CYCLE_1) | instskip(NEXT) | instid1(SALU_CYCLE_1)
	s_lshl_b64 s[28:29], s[28:29], 3
	s_add_nc_u64 s[28:29], s[6:7], s[28:29]
	s_wait_dscnt 0x0
	global_store_b64 v3, v[10:11], s[28:29]
	s_branch .LBB32_2
.LBB32_20:                              ;   in Loop: Header=BB32_3 Depth=1
	s_or_b32 exec_lo, exec_lo, s15
	s_delay_alu instid0(SALU_CYCLE_1)
	s_or_b32 exec_lo, exec_lo, s5
	s_and_saveexec_b32 s4, s0
	s_cbranch_execnz .LBB32_6
	s_branch .LBB32_7
.LBB32_21:
	s_endpgm
	.section	.rodata,"a",@progbits
	.p2align	6, 0x0
	.amdhsa_kernel _ZL20rocblas_trmvt_kernelILi512ELb1ELb1ELb1EPK19rocblas_complex_numIfEPS1_S4_EviT3_lllT4_lllT5_li
		.amdhsa_group_segment_fixed_size 256
		.amdhsa_private_segment_fixed_size 0
		.amdhsa_kernarg_size 92
		.amdhsa_user_sgpr_count 2
		.amdhsa_user_sgpr_dispatch_ptr 0
		.amdhsa_user_sgpr_queue_ptr 0
		.amdhsa_user_sgpr_kernarg_segment_ptr 1
		.amdhsa_user_sgpr_dispatch_id 0
		.amdhsa_user_sgpr_kernarg_preload_length 0
		.amdhsa_user_sgpr_kernarg_preload_offset 0
		.amdhsa_user_sgpr_private_segment_size 0
		.amdhsa_wavefront_size32 1
		.amdhsa_uses_dynamic_stack 0
		.amdhsa_enable_private_segment 0
		.amdhsa_system_sgpr_workgroup_id_x 1
		.amdhsa_system_sgpr_workgroup_id_y 0
		.amdhsa_system_sgpr_workgroup_id_z 1
		.amdhsa_system_sgpr_workgroup_info 0
		.amdhsa_system_vgpr_workitem_id 0
		.amdhsa_next_free_vgpr 30
		.amdhsa_next_free_sgpr 30
		.amdhsa_named_barrier_count 0
		.amdhsa_reserve_vcc 1
		.amdhsa_float_round_mode_32 0
		.amdhsa_float_round_mode_16_64 0
		.amdhsa_float_denorm_mode_32 3
		.amdhsa_float_denorm_mode_16_64 3
		.amdhsa_fp16_overflow 0
		.amdhsa_memory_ordered 1
		.amdhsa_forward_progress 1
		.amdhsa_inst_pref_size 10
		.amdhsa_round_robin_scheduling 0
		.amdhsa_exception_fp_ieee_invalid_op 0
		.amdhsa_exception_fp_denorm_src 0
		.amdhsa_exception_fp_ieee_div_zero 0
		.amdhsa_exception_fp_ieee_overflow 0
		.amdhsa_exception_fp_ieee_underflow 0
		.amdhsa_exception_fp_ieee_inexact 0
		.amdhsa_exception_int_div_zero 0
	.end_amdhsa_kernel
	.section	.text._ZL20rocblas_trmvt_kernelILi512ELb1ELb1ELb1EPK19rocblas_complex_numIfEPS1_S4_EviT3_lllT4_lllT5_li,"axG",@progbits,_ZL20rocblas_trmvt_kernelILi512ELb1ELb1ELb1EPK19rocblas_complex_numIfEPS1_S4_EviT3_lllT4_lllT5_li,comdat
.Lfunc_end32:
	.size	_ZL20rocblas_trmvt_kernelILi512ELb1ELb1ELb1EPK19rocblas_complex_numIfEPS1_S4_EviT3_lllT4_lllT5_li, .Lfunc_end32-_ZL20rocblas_trmvt_kernelILi512ELb1ELb1ELb1EPK19rocblas_complex_numIfEPS1_S4_EviT3_lllT4_lllT5_li
                                        ; -- End function
	.set _ZL20rocblas_trmvt_kernelILi512ELb1ELb1ELb1EPK19rocblas_complex_numIfEPS1_S4_EviT3_lllT4_lllT5_li.num_vgpr, 30
	.set _ZL20rocblas_trmvt_kernelILi512ELb1ELb1ELb1EPK19rocblas_complex_numIfEPS1_S4_EviT3_lllT4_lllT5_li.num_agpr, 0
	.set _ZL20rocblas_trmvt_kernelILi512ELb1ELb1ELb1EPK19rocblas_complex_numIfEPS1_S4_EviT3_lllT4_lllT5_li.numbered_sgpr, 30
	.set _ZL20rocblas_trmvt_kernelILi512ELb1ELb1ELb1EPK19rocblas_complex_numIfEPS1_S4_EviT3_lllT4_lllT5_li.num_named_barrier, 0
	.set _ZL20rocblas_trmvt_kernelILi512ELb1ELb1ELb1EPK19rocblas_complex_numIfEPS1_S4_EviT3_lllT4_lllT5_li.private_seg_size, 0
	.set _ZL20rocblas_trmvt_kernelILi512ELb1ELb1ELb1EPK19rocblas_complex_numIfEPS1_S4_EviT3_lllT4_lllT5_li.uses_vcc, 1
	.set _ZL20rocblas_trmvt_kernelILi512ELb1ELb1ELb1EPK19rocblas_complex_numIfEPS1_S4_EviT3_lllT4_lllT5_li.uses_flat_scratch, 0
	.set _ZL20rocblas_trmvt_kernelILi512ELb1ELb1ELb1EPK19rocblas_complex_numIfEPS1_S4_EviT3_lllT4_lllT5_li.has_dyn_sized_stack, 0
	.set _ZL20rocblas_trmvt_kernelILi512ELb1ELb1ELb1EPK19rocblas_complex_numIfEPS1_S4_EviT3_lllT4_lllT5_li.has_recursion, 0
	.set _ZL20rocblas_trmvt_kernelILi512ELb1ELb1ELb1EPK19rocblas_complex_numIfEPS1_S4_EviT3_lllT4_lllT5_li.has_indirect_call, 0
	.section	.AMDGPU.csdata,"",@progbits
; Kernel info:
; codeLenInByte = 1192
; TotalNumSgprs: 32
; NumVgprs: 30
; ScratchSize: 0
; MemoryBound: 0
; FloatMode: 240
; IeeeMode: 1
; LDSByteSize: 256 bytes/workgroup (compile time only)
; SGPRBlocks: 0
; VGPRBlocks: 1
; NumSGPRsForWavesPerEU: 32
; NumVGPRsForWavesPerEU: 30
; NamedBarCnt: 0
; Occupancy: 16
; WaveLimiterHint : 0
; COMPUTE_PGM_RSRC2:SCRATCH_EN: 0
; COMPUTE_PGM_RSRC2:USER_SGPR: 2
; COMPUTE_PGM_RSRC2:TRAP_HANDLER: 0
; COMPUTE_PGM_RSRC2:TGID_X_EN: 1
; COMPUTE_PGM_RSRC2:TGID_Y_EN: 0
; COMPUTE_PGM_RSRC2:TGID_Z_EN: 1
; COMPUTE_PGM_RSRC2:TIDIG_COMP_CNT: 0
	.section	.text._ZL20rocblas_trmvn_kernelILi64ELi16ELb1ELb0EPK19rocblas_complex_numIfEPS1_S4_EviT3_lllT4_lllT5_li,"axG",@progbits,_ZL20rocblas_trmvn_kernelILi64ELi16ELb1ELb0EPK19rocblas_complex_numIfEPS1_S4_EviT3_lllT4_lllT5_li,comdat
	.globl	_ZL20rocblas_trmvn_kernelILi64ELi16ELb1ELb0EPK19rocblas_complex_numIfEPS1_S4_EviT3_lllT4_lllT5_li ; -- Begin function _ZL20rocblas_trmvn_kernelILi64ELi16ELb1ELb0EPK19rocblas_complex_numIfEPS1_S4_EviT3_lllT4_lllT5_li
	.p2align	8
	.type	_ZL20rocblas_trmvn_kernelILi64ELi16ELb1ELb0EPK19rocblas_complex_numIfEPS1_S4_EviT3_lllT4_lllT5_li,@function
_ZL20rocblas_trmvn_kernelILi64ELi16ELb1ELb0EPK19rocblas_complex_numIfEPS1_S4_EviT3_lllT4_lllT5_li: ; @_ZL20rocblas_trmvn_kernelILi64ELi16ELb1ELb0EPK19rocblas_complex_numIfEPS1_S4_EviT3_lllT4_lllT5_li
; %bb.0:
	s_load_b32 s3, s[0:1], 0x58
	s_bfe_u32 s2, ttmp6, 0x40014
	s_lshr_b32 s4, ttmp7, 16
	s_add_co_i32 s2, s2, 1
	s_bfe_u32 s6, ttmp6, 0x40008
	s_mul_i32 s5, s4, s2
	s_getreg_b32 s2, hwreg(HW_REG_IB_STS2, 6, 4)
	s_add_co_i32 s6, s6, s5
	s_cmp_eq_u32 s2, 0
	s_mov_b32 s25, 0
	s_cselect_b32 s24, s4, s6
	s_wait_kmcnt 0x0
	s_cmp_ge_u32 s24, s3
	s_cbranch_scc1 .LBB33_14
; %bb.1:
	s_clause 0x1
	s_load_b512 s[4:19], s[0:1], 0x8
	s_load_b32 s20, s[0:1], 0x6c
	s_bfe_u32 s21, ttmp6, 0x4000c
	s_and_b32 s22, ttmp6, 15
	s_add_co_i32 s21, s21, 1
	v_and_b32_e32 v14, 0x3ff, v0
	s_mul_i32 s21, ttmp9, s21
	v_bfe_u32 v2, v0, 10, 10
	s_add_co_i32 s22, s22, s21
	s_load_b32 s26, s[0:1], 0x0
	v_lshlrev_b32_e32 v16, 3, v14
	s_wait_kmcnt 0x0
	s_lshl_b64 s[28:29], s[6:7], 3
	s_lshl_b64 s[14:15], s[14:15], 3
	s_and_b32 s27, s20, 0xffff
	s_cmp_eq_u32 s2, 0
	v_mad_u32_u24 v17, v2, s27, v14
	s_cselect_b32 s2, ttmp9, s22
	s_load_b128 s[20:23], s[0:1], 0x48
	v_lshl_add_u32 v0, s2, 6, v14
	v_mov_b32_e32 v3, 0
	s_wait_xcnt 0x0
	v_cmp_eq_u32_e64 s0, 0, v2
	s_add_nc_u64 s[12:13], s[12:13], s[14:15]
	v_cmp_gt_u32_e64 s1, 64, v17
	v_ashrrev_i32_e32 v1, 31, v0
	v_mul_u64_e32 v[8:9], s[8:9], v[2:3]
	v_mul_u64_e32 v[10:11], s[16:17], v[2:3]
	v_cmp_gt_i32_e32 vcc_lo, s26, v0
	s_add_nc_u64 s[6:7], s[4:5], s[28:29]
	v_mad_nc_u64_u32 v[4:5], v0, s8, v[0:1]
	v_mul_u64_e32 v[6:7], s[16:17], v[0:1]
	v_lshlrev_b64_e32 v[12:13], 3, v[0:1]
	s_lshl_b64 s[14:15], s[16:17], 7
	s_lshl_b64 s[16:17], s[10:11], 3
	s_delay_alu instid0(VALU_DEP_3) | instskip(SKIP_3) | instid1(VALU_DEP_2)
	v_mad_u32 v3, v1, s8, v5
	v_mul_u32_u24_e32 v1, s27, v2
	s_and_b32 s27, s0, vcc_lo
	v_cmp_gt_i32_e64 s0, s26, v2
	v_lshl_add_u32 v1, v1, 3, v16
	s_delay_alu instid0(VALU_DEP_4) | instskip(SKIP_4) | instid1(VALU_DEP_3)
	v_mad_u32 v5, v0, s9, v3
	v_lshlrev_b32_e32 v3, 9, v2
	s_lshl_b64 s[8:9], s[8:9], 7
	v_lshl_add_u64 v[8:9], v[8:9], 3, s[28:29]
	v_lshl_add_u64 v[10:11], v[10:11], 3, s[12:13]
	v_add_nc_u32_e32 v3, v16, v3
	s_delay_alu instid0(VALU_DEP_3) | instskip(SKIP_2) | instid1(VALU_DEP_2)
	v_add_nc_u64_e32 v[14:15], v[8:9], v[12:13]
	s_wait_kmcnt 0x0
	v_add_nc_u64_e32 v[8:9], s[20:21], v[12:13]
	v_add_nc_u64_e32 v[12:13], s[4:5], v[14:15]
	s_lshl_b64 s[4:5], s[18:19], 3
	s_branch .LBB33_3
.LBB33_2:                               ;   in Loop: Header=BB33_3 Depth=1
	s_wait_xcnt 0x0
	s_or_b32 exec_lo, exec_lo, s2
	s_add_co_i32 s24, s24, 0x10000
	s_delay_alu instid0(SALU_CYCLE_1)
	s_cmp_lt_u32 s24, s3
	s_cbranch_scc0 .LBB33_14
.LBB33_3:                               ; =>This Loop Header: Depth=1
                                        ;     Child Loop BB33_8 Depth 2
	v_mov_b64_e32 v[14:15], 0
	s_and_saveexec_b32 s2, s27
	s_cbranch_execz .LBB33_5
; %bb.4:                                ;   in Loop: Header=BB33_3 Depth=1
	s_mul_u64 s[20:21], s[10:11], s[24:25]
	s_mul_u64 s[28:29], s[18:19], s[24:25]
	s_lshl_b64 s[20:21], s[20:21], 3
	s_lshl_b64 s[28:29], s[28:29], 3
	s_add_nc_u64 s[20:21], s[6:7], s[20:21]
	s_add_nc_u64 s[28:29], s[12:13], s[28:29]
	v_lshl_add_u64 v[14:15], v[4:5], 3, s[20:21]
	v_lshl_add_u64 v[16:17], v[6:7], 3, s[28:29]
	global_load_b64 v[18:19], v[14:15], off
	global_load_b64 v[20:21], v[16:17], off
	s_wait_loadcnt 0x0
	s_wait_xcnt 0x1
	v_pk_mul_f32 v[14:15], v[20:21], v[18:19] op_sel:[1,1] op_sel_hi:[0,1]
	s_wait_xcnt 0x0
	s_delay_alu instid0(VALU_DEP_1) | instskip(SKIP_1) | instid1(VALU_DEP_2)
	v_pk_fma_f32 v[16:17], v[20:21], v[18:19], v[14:15] op_sel_hi:[1,0,1]
	v_pk_fma_f32 v[14:15], v[20:21], v[18:19], v[14:15] neg_lo:[0,0,1] neg_hi:[0,0,1]
	v_mov_b32_e32 v15, v17
.LBB33_5:                               ;   in Loop: Header=BB33_3 Depth=1
	s_or_b32 exec_lo, exec_lo, s2
	s_and_saveexec_b32 s20, s0
	s_cbranch_execz .LBB33_11
; %bb.6:                                ;   in Loop: Header=BB33_3 Depth=1
	v_mad_nc_u64_u32 v[16:17], s4, s24, v[10:11]
	v_mad_nc_u64_u32 v[18:19], s16, s24, v[12:13]
	v_mov_b32_e32 v20, v2
	s_mov_b32 s21, 0
	s_delay_alu instid0(VALU_DEP_3) | instskip(NEXT) | instid1(VALU_DEP_3)
	v_mad_u32 v17, s5, s24, v17
	v_mad_u32 v19, s17, s24, v19
	s_branch .LBB33_8
.LBB33_7:                               ;   in Loop: Header=BB33_8 Depth=2
	s_wait_xcnt 0x0
	s_or_b32 exec_lo, exec_lo, s2
	v_add_nc_u32_e32 v20, 16, v20
	v_add_nc_u64_e32 v[16:17], s[14:15], v[16:17]
	v_add_nc_u64_e32 v[18:19], s[8:9], v[18:19]
	s_delay_alu instid0(VALU_DEP_3) | instskip(SKIP_1) | instid1(SALU_CYCLE_1)
	v_cmp_le_i32_e64 s2, s26, v20
	s_or_b32 s21, s2, s21
	s_and_not1_b32 exec_lo, exec_lo, s21
	s_cbranch_execz .LBB33_10
.LBB33_8:                               ;   Parent Loop BB33_3 Depth=1
                                        ; =>  This Inner Loop Header: Depth=2
	v_cmp_lt_i32_e64 s2, v20, v0
	s_and_b32 s28, vcc_lo, s2
	s_delay_alu instid0(SALU_CYCLE_1)
	s_and_saveexec_b32 s2, s28
	s_cbranch_execz .LBB33_7
; %bb.9:                                ;   in Loop: Header=BB33_8 Depth=2
	global_load_b64 v[22:23], v[18:19], off
	global_load_b64 v[24:25], v[16:17], off
	s_wait_loadcnt 0x0
	v_pk_mul_f32 v[26:27], v[24:25], v[22:23] op_sel:[1,1] op_sel_hi:[0,1]
	s_delay_alu instid0(VALU_DEP_1) | instskip(SKIP_1) | instid1(VALU_DEP_2)
	v_pk_fma_f32 v[28:29], v[24:25], v[22:23], v[26:27] op_sel_hi:[1,0,1]
	v_pk_fma_f32 v[22:23], v[24:25], v[22:23], v[26:27] neg_lo:[0,0,1] neg_hi:[0,0,1]
	v_mov_b32_e32 v23, v29
	s_delay_alu instid0(VALU_DEP_1)
	v_pk_add_f32 v[14:15], v[14:15], v[22:23]
	s_branch .LBB33_7
.LBB33_10:                              ;   in Loop: Header=BB33_3 Depth=1
	s_or_b32 exec_lo, exec_lo, s21
.LBB33_11:                              ;   in Loop: Header=BB33_3 Depth=1
	s_delay_alu instid0(SALU_CYCLE_1)
	s_or_b32 exec_lo, exec_lo, s20
	ds_store_b64 v3, v[14:15]
	s_wait_dscnt 0x0
	s_barrier_signal -1
	s_barrier_wait -1
	s_and_saveexec_b32 s2, s1
	s_cbranch_execz .LBB33_2
; %bb.12:                               ;   in Loop: Header=BB33_3 Depth=1
	ds_load_2addr_stride64_b64 v[14:17], v1 offset1:1
	ds_load_2addr_stride64_b64 v[18:21], v1 offset0:2 offset1:3
	ds_load_2addr_stride64_b64 v[22:25], v1 offset0:4 offset1:5
	s_wait_dscnt 0x2
	v_pk_add_f32 v[26:27], v[14:15], v[16:17]
	ds_load_2addr_stride64_b64 v[14:17], v1 offset0:6 offset1:7
	s_wait_dscnt 0x2
	v_pk_add_f32 v[18:19], v[26:27], v[18:19]
	s_delay_alu instid0(VALU_DEP_1) | instskip(SKIP_3) | instid1(VALU_DEP_1)
	v_pk_add_f32 v[26:27], v[18:19], v[20:21]
	ds_load_2addr_stride64_b64 v[18:21], v1 offset0:8 offset1:9
	s_wait_dscnt 0x2
	v_pk_add_f32 v[22:23], v[26:27], v[22:23]
	v_pk_add_f32 v[26:27], v[22:23], v[24:25]
	ds_load_2addr_stride64_b64 v[22:25], v1 offset0:10 offset1:11
	s_wait_dscnt 0x2
	v_pk_add_f32 v[14:15], v[26:27], v[14:15]
	s_delay_alu instid0(VALU_DEP_1) | instskip(SKIP_1) | instid1(VALU_DEP_1)
	v_pk_add_f32 v[14:15], v[14:15], v[16:17]
	s_wait_dscnt 0x1
	v_pk_add_f32 v[18:19], v[14:15], v[18:19]
	ds_load_2addr_stride64_b64 v[14:17], v1 offset0:12 offset1:13
	v_pk_add_f32 v[18:19], v[18:19], v[20:21]
	s_wait_dscnt 0x1
	s_delay_alu instid0(VALU_DEP_1) | instskip(SKIP_3) | instid1(VALU_DEP_1)
	v_pk_add_f32 v[22:23], v[18:19], v[22:23]
	ds_load_2addr_stride64_b64 v[18:21], v1 offset0:14 offset1:15
	v_pk_add_f32 v[22:23], v[22:23], v[24:25]
	s_wait_dscnt 0x1
	v_pk_add_f32 v[14:15], v[22:23], v[14:15]
	s_delay_alu instid0(VALU_DEP_1) | instskip(SKIP_1) | instid1(VALU_DEP_1)
	v_pk_add_f32 v[14:15], v[14:15], v[16:17]
	s_wait_dscnt 0x0
	v_pk_add_f32 v[14:15], v[14:15], v[18:19]
	s_delay_alu instid0(VALU_DEP_1)
	v_pk_add_f32 v[14:15], v[14:15], v[20:21]
	ds_store_b64 v1, v[14:15]
	s_and_b32 exec_lo, exec_lo, vcc_lo
	s_cbranch_execz .LBB33_2
; %bb.13:                               ;   in Loop: Header=BB33_3 Depth=1
	s_mul_u64 s[20:21], s[22:23], s[24:25]
	s_delay_alu instid0(SALU_CYCLE_1)
	v_lshl_add_u64 v[16:17], s[20:21], 3, v[8:9]
	global_store_b64 v[16:17], v[14:15], off
	s_branch .LBB33_2
.LBB33_14:
	s_endpgm
	.section	.rodata,"a",@progbits
	.p2align	6, 0x0
	.amdhsa_kernel _ZL20rocblas_trmvn_kernelILi64ELi16ELb1ELb0EPK19rocblas_complex_numIfEPS1_S4_EviT3_lllT4_lllT5_li
		.amdhsa_group_segment_fixed_size 8192
		.amdhsa_private_segment_fixed_size 0
		.amdhsa_kernarg_size 352
		.amdhsa_user_sgpr_count 2
		.amdhsa_user_sgpr_dispatch_ptr 0
		.amdhsa_user_sgpr_queue_ptr 0
		.amdhsa_user_sgpr_kernarg_segment_ptr 1
		.amdhsa_user_sgpr_dispatch_id 0
		.amdhsa_user_sgpr_kernarg_preload_length 0
		.amdhsa_user_sgpr_kernarg_preload_offset 0
		.amdhsa_user_sgpr_private_segment_size 0
		.amdhsa_wavefront_size32 1
		.amdhsa_uses_dynamic_stack 0
		.amdhsa_enable_private_segment 0
		.amdhsa_system_sgpr_workgroup_id_x 1
		.amdhsa_system_sgpr_workgroup_id_y 0
		.amdhsa_system_sgpr_workgroup_id_z 1
		.amdhsa_system_sgpr_workgroup_info 0
		.amdhsa_system_vgpr_workitem_id 1
		.amdhsa_next_free_vgpr 30
		.amdhsa_next_free_sgpr 30
		.amdhsa_named_barrier_count 0
		.amdhsa_reserve_vcc 1
		.amdhsa_float_round_mode_32 0
		.amdhsa_float_round_mode_16_64 0
		.amdhsa_float_denorm_mode_32 3
		.amdhsa_float_denorm_mode_16_64 3
		.amdhsa_fp16_overflow 0
		.amdhsa_memory_ordered 1
		.amdhsa_forward_progress 1
		.amdhsa_inst_pref_size 9
		.amdhsa_round_robin_scheduling 0
		.amdhsa_exception_fp_ieee_invalid_op 0
		.amdhsa_exception_fp_denorm_src 0
		.amdhsa_exception_fp_ieee_div_zero 0
		.amdhsa_exception_fp_ieee_overflow 0
		.amdhsa_exception_fp_ieee_underflow 0
		.amdhsa_exception_fp_ieee_inexact 0
		.amdhsa_exception_int_div_zero 0
	.end_amdhsa_kernel
	.section	.text._ZL20rocblas_trmvn_kernelILi64ELi16ELb1ELb0EPK19rocblas_complex_numIfEPS1_S4_EviT3_lllT4_lllT5_li,"axG",@progbits,_ZL20rocblas_trmvn_kernelILi64ELi16ELb1ELb0EPK19rocblas_complex_numIfEPS1_S4_EviT3_lllT4_lllT5_li,comdat
.Lfunc_end33:
	.size	_ZL20rocblas_trmvn_kernelILi64ELi16ELb1ELb0EPK19rocblas_complex_numIfEPS1_S4_EviT3_lllT4_lllT5_li, .Lfunc_end33-_ZL20rocblas_trmvn_kernelILi64ELi16ELb1ELb0EPK19rocblas_complex_numIfEPS1_S4_EviT3_lllT4_lllT5_li
                                        ; -- End function
	.set _ZL20rocblas_trmvn_kernelILi64ELi16ELb1ELb0EPK19rocblas_complex_numIfEPS1_S4_EviT3_lllT4_lllT5_li.num_vgpr, 30
	.set _ZL20rocblas_trmvn_kernelILi64ELi16ELb1ELb0EPK19rocblas_complex_numIfEPS1_S4_EviT3_lllT4_lllT5_li.num_agpr, 0
	.set _ZL20rocblas_trmvn_kernelILi64ELi16ELb1ELb0EPK19rocblas_complex_numIfEPS1_S4_EviT3_lllT4_lllT5_li.numbered_sgpr, 30
	.set _ZL20rocblas_trmvn_kernelILi64ELi16ELb1ELb0EPK19rocblas_complex_numIfEPS1_S4_EviT3_lllT4_lllT5_li.num_named_barrier, 0
	.set _ZL20rocblas_trmvn_kernelILi64ELi16ELb1ELb0EPK19rocblas_complex_numIfEPS1_S4_EviT3_lllT4_lllT5_li.private_seg_size, 0
	.set _ZL20rocblas_trmvn_kernelILi64ELi16ELb1ELb0EPK19rocblas_complex_numIfEPS1_S4_EviT3_lllT4_lllT5_li.uses_vcc, 1
	.set _ZL20rocblas_trmvn_kernelILi64ELi16ELb1ELb0EPK19rocblas_complex_numIfEPS1_S4_EviT3_lllT4_lllT5_li.uses_flat_scratch, 0
	.set _ZL20rocblas_trmvn_kernelILi64ELi16ELb1ELb0EPK19rocblas_complex_numIfEPS1_S4_EviT3_lllT4_lllT5_li.has_dyn_sized_stack, 0
	.set _ZL20rocblas_trmvn_kernelILi64ELi16ELb1ELb0EPK19rocblas_complex_numIfEPS1_S4_EviT3_lllT4_lllT5_li.has_recursion, 0
	.set _ZL20rocblas_trmvn_kernelILi64ELi16ELb1ELb0EPK19rocblas_complex_numIfEPS1_S4_EviT3_lllT4_lllT5_li.has_indirect_call, 0
	.section	.AMDGPU.csdata,"",@progbits
; Kernel info:
; codeLenInByte = 1048
; TotalNumSgprs: 32
; NumVgprs: 30
; ScratchSize: 0
; MemoryBound: 0
; FloatMode: 240
; IeeeMode: 1
; LDSByteSize: 8192 bytes/workgroup (compile time only)
; SGPRBlocks: 0
; VGPRBlocks: 1
; NumSGPRsForWavesPerEU: 32
; NumVGPRsForWavesPerEU: 30
; NamedBarCnt: 0
; Occupancy: 16
; WaveLimiterHint : 0
; COMPUTE_PGM_RSRC2:SCRATCH_EN: 0
; COMPUTE_PGM_RSRC2:USER_SGPR: 2
; COMPUTE_PGM_RSRC2:TRAP_HANDLER: 0
; COMPUTE_PGM_RSRC2:TGID_X_EN: 1
; COMPUTE_PGM_RSRC2:TGID_Y_EN: 0
; COMPUTE_PGM_RSRC2:TGID_Z_EN: 1
; COMPUTE_PGM_RSRC2:TIDIG_COMP_CNT: 1
	.section	.text._ZL20rocblas_trmvt_kernelILi512ELb1ELb0ELb0EPK19rocblas_complex_numIfEPS1_S4_EviT3_lllT4_lllT5_li,"axG",@progbits,_ZL20rocblas_trmvt_kernelILi512ELb1ELb0ELb0EPK19rocblas_complex_numIfEPS1_S4_EviT3_lllT4_lllT5_li,comdat
	.globl	_ZL20rocblas_trmvt_kernelILi512ELb1ELb0ELb0EPK19rocblas_complex_numIfEPS1_S4_EviT3_lllT4_lllT5_li ; -- Begin function _ZL20rocblas_trmvt_kernelILi512ELb1ELb0ELb0EPK19rocblas_complex_numIfEPS1_S4_EviT3_lllT4_lllT5_li
	.p2align	8
	.type	_ZL20rocblas_trmvt_kernelILi512ELb1ELb0ELb0EPK19rocblas_complex_numIfEPS1_S4_EviT3_lllT4_lllT5_li,@function
_ZL20rocblas_trmvt_kernelILi512ELb1ELb0ELb0EPK19rocblas_complex_numIfEPS1_S4_EviT3_lllT4_lllT5_li: ; @_ZL20rocblas_trmvt_kernelILi512ELb1ELb0ELb0EPK19rocblas_complex_numIfEPS1_S4_EviT3_lllT4_lllT5_li
; %bb.0:
	s_load_b32 s28, s[0:1], 0x58
	s_bfe_u32 s2, ttmp6, 0x40014
	s_lshr_b32 s3, ttmp7, 16
	s_add_co_i32 s2, s2, 1
	s_bfe_u32 s5, ttmp6, 0x40008
	s_mul_i32 s4, s3, s2
	s_getreg_b32 s2, hwreg(HW_REG_IB_STS2, 6, 4)
	s_add_co_i32 s5, s5, s4
	s_cmp_eq_u32 s2, 0
	s_mov_b32 s25, 0
	s_cselect_b32 s24, s3, s5
	s_wait_kmcnt 0x0
	s_cmp_ge_u32 s24, s28
	s_cbranch_scc1 .LBB34_21
; %bb.1:
	s_clause 0x2
	s_load_b32 s29, s[0:1], 0x0
	s_load_b512 s[4:19], s[0:1], 0x8
	s_load_b128 s[20:23], s[0:1], 0x48
	v_mbcnt_lo_u32_b32 v7, -1, 0
	s_wait_xcnt 0x0
	s_bfe_u32 s0, ttmp6, 0x4000c
	v_dual_mov_b32 v3, 0 :: v_dual_bitop2_b32 v6, 31, v0 bitop3:0x40
	s_add_co_i32 s1, s0, 1
	s_and_b32 s3, ttmp6, 15
	s_mul_i32 s26, ttmp9, s1
	v_cmp_gt_u32_e64 s1, 24, v7
	v_dual_mov_b32 v1, v3 :: v_dual_lshlrev_b32 v18, 3, v6
	s_add_co_i32 s3, s3, s26
	v_lshl_or_b32 v19, v7, 2, 64
	v_cndmask_b32_e64 v8, 0, 8, s1
	v_cmp_gt_u32_e64 s0, 32, v0
	v_cmp_eq_u32_e32 vcc_lo, 0, v0
	s_wait_kmcnt 0x0
	v_cmp_gt_i32_e64 s1, s29, v0
	v_mul_u64_e32 v[10:11], s[16:17], v[0:1]
	s_lshl_b64 s[14:15], s[14:15], 3
	s_lshl_b64 s[26:27], s[6:7], 3
	s_cmp_eq_u32 s2, 0
	v_cndmask_b32_e64 v2, 0, v0, s1
	v_cmp_gt_u32_e64 s2, 28, v7
	v_add_lshl_u32 v1, v8, v7, 2
	v_lshrrev_b32_e32 v8, 2, v0
	s_cselect_b32 s6, ttmp9, s3
	v_lshlrev_b32_e32 v2, 3, v2
	v_cndmask_b32_e64 v9, 0, 4, s2
	s_add_nc_u64 s[2:3], s[4:5], s[26:27]
	s_ashr_i32 s7, s6, 31
	v_and_b32_e32 v23, 0x78, v8
	v_add_nc_u64_e32 v[4:5], s[2:3], v[2:3]
	v_cmp_gt_u32_e64 s2, 30, v7
	v_add_lshl_u32 v20, v9, v7, 2
	v_mov_b64_e32 v[8:9], 0
	s_mul_u64 s[30:31], s[16:17], s[6:7]
	s_lshl_b64 s[16:17], s[16:17], 12
	v_cndmask_b32_e64 v12, 0, 2, s2
	s_mul_u64 s[2:3], s[8:9], s[6:7]
	s_add_nc_u64 s[8:9], s[12:13], s[14:15]
	s_lshl_b64 s[12:13], s[2:3], 3
	v_cmp_ne_u32_e64 s2, 31, v7
	v_add_nc_u64_e32 v[4:5], s[12:13], v[4:5]
	s_add_nc_u64 s[12:13], s[12:13], s[26:27]
	v_add_lshl_u32 v21, v12, v7, 2
	s_add_nc_u64 s[4:5], s[4:5], s[12:13]
	v_add_co_ci_u32_e64 v13, null, 0, v7, s2
	v_cmp_eq_u32_e64 s2, 0, v6
	v_cmp_gt_u32_e64 s3, 16, v0
	v_lshl_add_u64 v[10:11], v[10:11], 3, s[8:9]
	s_delay_alu instid0(VALU_DEP_4)
	v_lshlrev_b32_e32 v22, 2, v13
	v_add_nc_u64_e32 v[6:7], s[4:5], v[2:3]
	s_lshl_b64 s[14:15], s[6:7], 3
	s_lshl_b64 s[26:27], s[30:31], 3
	s_add_nc_u64 s[12:13], s[20:21], s[14:15]
	s_lshl_b64 s[14:15], s[10:11], 3
	s_lshl_b64 s[20:21], s[18:19], 3
	s_branch .LBB34_3
.LBB34_2:                               ;   in Loop: Header=BB34_3 Depth=1
	s_wait_xcnt 0x0
	s_or_b32 exec_lo, exec_lo, s4
	s_add_co_i32 s24, s24, 0x10000
	s_delay_alu instid0(SALU_CYCLE_1)
	s_cmp_lt_u32 s24, s28
	s_cbranch_scc0 .LBB34_21
.LBB34_3:                               ; =>This Loop Header: Depth=1
                                        ;     Child Loop BB34_15 Depth 2
	s_wait_dscnt 0x0
	v_mov_b64_e32 v[12:13], 0
	s_and_saveexec_b32 s4, vcc_lo
	s_cbranch_execnz .LBB34_12
; %bb.4:                                ;   in Loop: Header=BB34_3 Depth=1
	s_or_b32 exec_lo, exec_lo, s4
	s_and_saveexec_b32 s5, s1
	s_cbranch_execnz .LBB34_13
.LBB34_5:                               ;   in Loop: Header=BB34_3 Depth=1
	s_or_b32 exec_lo, exec_lo, s5
	s_and_saveexec_b32 s4, s0
.LBB34_6:                               ;   in Loop: Header=BB34_3 Depth=1
	ds_store_b64 v18, v[8:9]
.LBB34_7:                               ;   in Loop: Header=BB34_3 Depth=1
	s_or_b32 exec_lo, exec_lo, s4
	ds_bpermute_b32 v14, v19, v12
	ds_bpermute_b32 v15, v19, v13
	s_wait_dscnt 0x0
	s_barrier_signal -1
	s_barrier_wait -1
	v_pk_add_f32 v[12:13], v[12:13], v[14:15]
	ds_bpermute_b32 v14, v1, v12
	ds_bpermute_b32 v15, v1, v13
	s_wait_dscnt 0x0
	v_pk_add_f32 v[12:13], v[12:13], v[14:15]
	ds_bpermute_b32 v14, v20, v12
	ds_bpermute_b32 v15, v20, v13
	s_wait_dscnt 0x0
	;; [unrolled: 4-line block ×3, first 2 shown]
	v_pk_add_f32 v[12:13], v[12:13], v[14:15]
	ds_bpermute_b32 v14, v22, v12
	ds_bpermute_b32 v15, v22, v13
	s_and_saveexec_b32 s4, s2
	s_cbranch_execz .LBB34_9
; %bb.8:                                ;   in Loop: Header=BB34_3 Depth=1
	s_wait_dscnt 0x0
	v_pk_add_f32 v[12:13], v[12:13], v[14:15]
	ds_store_b64 v23, v[12:13]
.LBB34_9:                               ;   in Loop: Header=BB34_3 Depth=1
	s_or_b32 exec_lo, exec_lo, s4
	v_mov_b64_e32 v[12:13], 0
	s_wait_dscnt 0x0
	s_barrier_signal -1
	s_barrier_wait -1
	s_and_saveexec_b32 s4, s3
	s_cbranch_execnz .LBB34_17
; %bb.10:                               ;   in Loop: Header=BB34_3 Depth=1
	s_or_b32 exec_lo, exec_lo, s4
	s_and_saveexec_b32 s4, s0
	s_cbranch_execnz .LBB34_18
.LBB34_11:                              ;   in Loop: Header=BB34_3 Depth=1
	s_or_b32 exec_lo, exec_lo, s4
	s_and_saveexec_b32 s4, vcc_lo
	s_cbranch_execz .LBB34_2
	s_branch .LBB34_19
.LBB34_12:                              ;   in Loop: Header=BB34_3 Depth=1
	s_mul_u64 s[30:31], s[10:11], s[24:25]
	s_delay_alu instid0(SALU_CYCLE_1) | instskip(SKIP_1) | instid1(SALU_CYCLE_1)
	v_lshl_add_u64 v[12:13], s[30:31], 3, v[4:5]
	s_mul_u64 s[30:31], s[18:19], s[24:25]
	s_lshl_b64 s[30:31], s[30:31], 3
	s_delay_alu instid0(SALU_CYCLE_1) | instskip(NEXT) | instid1(VALU_DEP_1)
	s_add_nc_u64 s[30:31], s[8:9], s[30:31]
	v_lshl_add_u64 v[12:13], s[6:7], 3, v[12:13]
	s_add_nc_u64 s[30:31], s[30:31], s[26:27]
	global_load_b64 v[14:15], v[12:13], off
	global_load_b64 v[16:17], v3, s[30:31]
	s_wait_loadcnt 0x0
	s_wait_xcnt 0x1
	v_pk_mul_f32 v[12:13], v[16:17], v[14:15] op_sel:[1,1] op_sel_hi:[0,1]
	s_delay_alu instid0(VALU_DEP_1) | instskip(SKIP_1) | instid1(VALU_DEP_2)
	v_pk_fma_f32 v[24:25], v[16:17], v[14:15], v[12:13] op_sel_hi:[1,0,1]
	v_pk_fma_f32 v[12:13], v[16:17], v[14:15], v[12:13] neg_lo:[0,0,1] neg_hi:[0,0,1]
	v_mov_b32_e32 v13, v25
	s_delay_alu instid0(VALU_DEP_1)
	v_pk_add_f32 v[12:13], v[12:13], 0 op_sel_hi:[1,0]
	s_wait_xcnt 0x0
	s_or_b32 exec_lo, exec_lo, s4
	s_and_saveexec_b32 s5, s1
	s_cbranch_execz .LBB34_5
.LBB34_13:                              ;   in Loop: Header=BB34_3 Depth=1
	v_mad_nc_u64_u32 v[14:15], s14, s24, v[6:7]
	v_mad_nc_u64_u32 v[16:17], s20, s24, v[10:11]
	v_mov_b32_e32 v2, v0
	s_mov_b32 s30, 0
	s_delay_alu instid0(VALU_DEP_3) | instskip(NEXT) | instid1(VALU_DEP_3)
	v_mad_u32 v15, s15, s24, v15
	v_mad_u32 v17, s21, s24, v17
	s_branch .LBB34_15
.LBB34_14:                              ;   in Loop: Header=BB34_15 Depth=2
	s_wait_xcnt 0x0
	s_or_b32 exec_lo, exec_lo, s31
	v_add_nc_u32_e32 v2, 0x200, v2
	s_delay_alu instid0(VALU_DEP_4) | instskip(NEXT) | instid1(VALU_DEP_4)
	v_add_nc_u64_e32 v[14:15], 0x1000, v[14:15]
	v_add_nc_u64_e32 v[16:17], s[16:17], v[16:17]
	s_delay_alu instid0(VALU_DEP_3) | instskip(SKIP_1) | instid1(SALU_CYCLE_1)
	v_cmp_le_i32_e64 s4, s29, v2
	s_or_b32 s30, s4, s30
	s_and_not1_b32 exec_lo, exec_lo, s30
	s_cbranch_execz .LBB34_20
.LBB34_15:                              ;   Parent Loop BB34_3 Depth=1
                                        ; =>  This Inner Loop Header: Depth=2
	s_mov_b32 s31, exec_lo
	v_cmpx_lt_i32_e64 s6, v2
	s_cbranch_execz .LBB34_14
; %bb.16:                               ;   in Loop: Header=BB34_15 Depth=2
	global_load_b64 v[24:25], v[14:15], off
	global_load_b64 v[26:27], v[16:17], off
	s_wait_loadcnt 0x0
	v_pk_mul_f32 v[28:29], v[26:27], v[24:25] op_sel:[1,1] op_sel_hi:[0,1]
	s_delay_alu instid0(VALU_DEP_1) | instskip(SKIP_1) | instid1(VALU_DEP_2)
	v_pk_fma_f32 v[30:31], v[26:27], v[24:25], v[28:29] op_sel_hi:[1,0,1]
	v_pk_fma_f32 v[24:25], v[26:27], v[24:25], v[28:29] neg_lo:[0,0,1] neg_hi:[0,0,1]
	v_mov_b32_e32 v25, v31
	s_delay_alu instid0(VALU_DEP_1)
	v_pk_add_f32 v[12:13], v[12:13], v[24:25]
	s_branch .LBB34_14
.LBB34_17:                              ;   in Loop: Header=BB34_3 Depth=1
	ds_load_b64 v[12:13], v18
	s_or_b32 exec_lo, exec_lo, s4
	s_and_saveexec_b32 s4, s0
	s_cbranch_execz .LBB34_11
.LBB34_18:                              ;   in Loop: Header=BB34_3 Depth=1
	s_wait_dscnt 0x0
	ds_bpermute_b32 v14, v1, v12
	ds_bpermute_b32 v15, v1, v13
	s_wait_dscnt 0x0
	v_pk_add_f32 v[12:13], v[12:13], v[14:15]
	ds_bpermute_b32 v14, v20, v12
	ds_bpermute_b32 v15, v20, v13
	s_wait_dscnt 0x0
	v_pk_add_f32 v[12:13], v[12:13], v[14:15]
	;; [unrolled: 4-line block ×4, first 2 shown]
	s_or_b32 exec_lo, exec_lo, s4
	s_and_saveexec_b32 s4, vcc_lo
	s_cbranch_execz .LBB34_2
.LBB34_19:                              ;   in Loop: Header=BB34_3 Depth=1
	s_mul_u64 s[30:31], s[22:23], s[24:25]
	s_delay_alu instid0(SALU_CYCLE_1) | instskip(NEXT) | instid1(SALU_CYCLE_1)
	s_lshl_b64 s[30:31], s[30:31], 3
	s_add_nc_u64 s[30:31], s[12:13], s[30:31]
	s_wait_dscnt 0x0
	global_store_b64 v3, v[12:13], s[30:31]
	s_branch .LBB34_2
.LBB34_20:                              ;   in Loop: Header=BB34_3 Depth=1
	s_or_b32 exec_lo, exec_lo, s30
	s_delay_alu instid0(SALU_CYCLE_1)
	s_or_b32 exec_lo, exec_lo, s5
	s_and_saveexec_b32 s4, s0
	s_cbranch_execnz .LBB34_6
	s_branch .LBB34_7
.LBB34_21:
	s_endpgm
	.section	.rodata,"a",@progbits
	.p2align	6, 0x0
	.amdhsa_kernel _ZL20rocblas_trmvt_kernelILi512ELb1ELb0ELb0EPK19rocblas_complex_numIfEPS1_S4_EviT3_lllT4_lllT5_li
		.amdhsa_group_segment_fixed_size 256
		.amdhsa_private_segment_fixed_size 0
		.amdhsa_kernarg_size 92
		.amdhsa_user_sgpr_count 2
		.amdhsa_user_sgpr_dispatch_ptr 0
		.amdhsa_user_sgpr_queue_ptr 0
		.amdhsa_user_sgpr_kernarg_segment_ptr 1
		.amdhsa_user_sgpr_dispatch_id 0
		.amdhsa_user_sgpr_kernarg_preload_length 0
		.amdhsa_user_sgpr_kernarg_preload_offset 0
		.amdhsa_user_sgpr_private_segment_size 0
		.amdhsa_wavefront_size32 1
		.amdhsa_uses_dynamic_stack 0
		.amdhsa_enable_private_segment 0
		.amdhsa_system_sgpr_workgroup_id_x 1
		.amdhsa_system_sgpr_workgroup_id_y 0
		.amdhsa_system_sgpr_workgroup_id_z 1
		.amdhsa_system_sgpr_workgroup_info 0
		.amdhsa_system_vgpr_workitem_id 0
		.amdhsa_next_free_vgpr 32
		.amdhsa_next_free_sgpr 32
		.amdhsa_named_barrier_count 0
		.amdhsa_reserve_vcc 1
		.amdhsa_float_round_mode_32 0
		.amdhsa_float_round_mode_16_64 0
		.amdhsa_float_denorm_mode_32 3
		.amdhsa_float_denorm_mode_16_64 3
		.amdhsa_fp16_overflow 0
		.amdhsa_memory_ordered 1
		.amdhsa_forward_progress 1
		.amdhsa_inst_pref_size 10
		.amdhsa_round_robin_scheduling 0
		.amdhsa_exception_fp_ieee_invalid_op 0
		.amdhsa_exception_fp_denorm_src 0
		.amdhsa_exception_fp_ieee_div_zero 0
		.amdhsa_exception_fp_ieee_overflow 0
		.amdhsa_exception_fp_ieee_underflow 0
		.amdhsa_exception_fp_ieee_inexact 0
		.amdhsa_exception_int_div_zero 0
	.end_amdhsa_kernel
	.section	.text._ZL20rocblas_trmvt_kernelILi512ELb1ELb0ELb0EPK19rocblas_complex_numIfEPS1_S4_EviT3_lllT4_lllT5_li,"axG",@progbits,_ZL20rocblas_trmvt_kernelILi512ELb1ELb0ELb0EPK19rocblas_complex_numIfEPS1_S4_EviT3_lllT4_lllT5_li,comdat
.Lfunc_end34:
	.size	_ZL20rocblas_trmvt_kernelILi512ELb1ELb0ELb0EPK19rocblas_complex_numIfEPS1_S4_EviT3_lllT4_lllT5_li, .Lfunc_end34-_ZL20rocblas_trmvt_kernelILi512ELb1ELb0ELb0EPK19rocblas_complex_numIfEPS1_S4_EviT3_lllT4_lllT5_li
                                        ; -- End function
	.set _ZL20rocblas_trmvt_kernelILi512ELb1ELb0ELb0EPK19rocblas_complex_numIfEPS1_S4_EviT3_lllT4_lllT5_li.num_vgpr, 32
	.set _ZL20rocblas_trmvt_kernelILi512ELb1ELb0ELb0EPK19rocblas_complex_numIfEPS1_S4_EviT3_lllT4_lllT5_li.num_agpr, 0
	.set _ZL20rocblas_trmvt_kernelILi512ELb1ELb0ELb0EPK19rocblas_complex_numIfEPS1_S4_EviT3_lllT4_lllT5_li.numbered_sgpr, 32
	.set _ZL20rocblas_trmvt_kernelILi512ELb1ELb0ELb0EPK19rocblas_complex_numIfEPS1_S4_EviT3_lllT4_lllT5_li.num_named_barrier, 0
	.set _ZL20rocblas_trmvt_kernelILi512ELb1ELb0ELb0EPK19rocblas_complex_numIfEPS1_S4_EviT3_lllT4_lllT5_li.private_seg_size, 0
	.set _ZL20rocblas_trmvt_kernelILi512ELb1ELb0ELb0EPK19rocblas_complex_numIfEPS1_S4_EviT3_lllT4_lllT5_li.uses_vcc, 1
	.set _ZL20rocblas_trmvt_kernelILi512ELb1ELb0ELb0EPK19rocblas_complex_numIfEPS1_S4_EviT3_lllT4_lllT5_li.uses_flat_scratch, 0
	.set _ZL20rocblas_trmvt_kernelILi512ELb1ELb0ELb0EPK19rocblas_complex_numIfEPS1_S4_EviT3_lllT4_lllT5_li.has_dyn_sized_stack, 0
	.set _ZL20rocblas_trmvt_kernelILi512ELb1ELb0ELb0EPK19rocblas_complex_numIfEPS1_S4_EviT3_lllT4_lllT5_li.has_recursion, 0
	.set _ZL20rocblas_trmvt_kernelILi512ELb1ELb0ELb0EPK19rocblas_complex_numIfEPS1_S4_EviT3_lllT4_lllT5_li.has_indirect_call, 0
	.section	.AMDGPU.csdata,"",@progbits
; Kernel info:
; codeLenInByte = 1264
; TotalNumSgprs: 34
; NumVgprs: 32
; ScratchSize: 0
; MemoryBound: 0
; FloatMode: 240
; IeeeMode: 1
; LDSByteSize: 256 bytes/workgroup (compile time only)
; SGPRBlocks: 0
; VGPRBlocks: 1
; NumSGPRsForWavesPerEU: 34
; NumVGPRsForWavesPerEU: 32
; NamedBarCnt: 0
; Occupancy: 16
; WaveLimiterHint : 0
; COMPUTE_PGM_RSRC2:SCRATCH_EN: 0
; COMPUTE_PGM_RSRC2:USER_SGPR: 2
; COMPUTE_PGM_RSRC2:TRAP_HANDLER: 0
; COMPUTE_PGM_RSRC2:TGID_X_EN: 1
; COMPUTE_PGM_RSRC2:TGID_Y_EN: 0
; COMPUTE_PGM_RSRC2:TGID_Z_EN: 1
; COMPUTE_PGM_RSRC2:TIDIG_COMP_CNT: 0
	.section	.text._ZL20rocblas_trmvt_kernelILi512ELb1ELb1ELb0EPK19rocblas_complex_numIfEPS1_S4_EviT3_lllT4_lllT5_li,"axG",@progbits,_ZL20rocblas_trmvt_kernelILi512ELb1ELb1ELb0EPK19rocblas_complex_numIfEPS1_S4_EviT3_lllT4_lllT5_li,comdat
	.globl	_ZL20rocblas_trmvt_kernelILi512ELb1ELb1ELb0EPK19rocblas_complex_numIfEPS1_S4_EviT3_lllT4_lllT5_li ; -- Begin function _ZL20rocblas_trmvt_kernelILi512ELb1ELb1ELb0EPK19rocblas_complex_numIfEPS1_S4_EviT3_lllT4_lllT5_li
	.p2align	8
	.type	_ZL20rocblas_trmvt_kernelILi512ELb1ELb1ELb0EPK19rocblas_complex_numIfEPS1_S4_EviT3_lllT4_lllT5_li,@function
_ZL20rocblas_trmvt_kernelILi512ELb1ELb1ELb0EPK19rocblas_complex_numIfEPS1_S4_EviT3_lllT4_lllT5_li: ; @_ZL20rocblas_trmvt_kernelILi512ELb1ELb1ELb0EPK19rocblas_complex_numIfEPS1_S4_EviT3_lllT4_lllT5_li
; %bb.0:
	s_load_b32 s28, s[0:1], 0x58
	s_bfe_u32 s2, ttmp6, 0x40014
	s_lshr_b32 s3, ttmp7, 16
	s_add_co_i32 s2, s2, 1
	s_bfe_u32 s5, ttmp6, 0x40008
	s_mul_i32 s4, s3, s2
	s_getreg_b32 s2, hwreg(HW_REG_IB_STS2, 6, 4)
	s_add_co_i32 s5, s5, s4
	s_cmp_eq_u32 s2, 0
	s_mov_b32 s25, 0
	s_cselect_b32 s24, s3, s5
	s_wait_kmcnt 0x0
	s_cmp_ge_u32 s24, s28
	s_cbranch_scc1 .LBB35_21
; %bb.1:
	s_clause 0x2
	s_load_b32 s29, s[0:1], 0x0
	s_load_b512 s[4:19], s[0:1], 0x8
	s_load_b128 s[20:23], s[0:1], 0x48
	v_mbcnt_lo_u32_b32 v6, -1, 0
	s_wait_xcnt 0x0
	s_bfe_u32 s0, ttmp6, 0x4000c
	v_dual_mov_b32 v3, 0 :: v_dual_bitop2_b32 v8, 31, v0 bitop3:0x40
	s_add_co_i32 s1, s0, 1
	s_and_b32 s3, ttmp6, 15
	s_mul_i32 s26, ttmp9, s1
	v_cmp_gt_u32_e64 s1, 24, v6
	v_dual_mov_b32 v1, v3 :: v_dual_lshlrev_b32 v18, 3, v8
	s_add_co_i32 s30, s3, s26
	v_lshl_or_b32 v19, v6, 2, 64
	v_cndmask_b32_e64 v2, 0, 8, s1
	v_cmp_gt_u32_e64 s1, 28, v6
	v_cmp_gt_u32_e64 s0, 32, v0
	v_cmp_eq_u32_e32 vcc_lo, 0, v0
	v_lshrrev_b32_e32 v12, 2, v0
	v_add_lshl_u32 v20, v2, v6, 2
	v_cndmask_b32_e64 v7, 0, 4, s1
	s_wait_kmcnt 0x0
	v_cmp_gt_i32_e64 s1, s29, v0
	s_lshl_b64 s[14:15], s[14:15], 3
	v_mul_u64_e32 v[10:11], s[16:17], v[0:1]
	s_lshl_b64 s[26:27], s[6:7], 3
	s_cmp_eq_u32 s2, 0
	v_cndmask_b32_e64 v4, 0, v0, s1
	s_cselect_b32 s6, ttmp9, s30
	s_add_nc_u64 s[2:3], s[4:5], s[26:27]
	s_ashr_i32 s7, s6, 31
	v_add_lshl_u32 v1, v7, v6, 2
	v_lshlrev_b32_e32 v2, 3, v4
	v_and_b32_e32 v22, 0x78, v12
	s_mul_u64 s[30:31], s[16:17], s[6:7]
	s_lshl_b64 s[16:17], s[16:17], 12
	s_delay_alu instid0(VALU_DEP_2)
	v_add_nc_u64_e32 v[4:5], s[2:3], v[2:3]
	s_mul_u64 s[2:3], s[8:9], s[6:7]
	s_add_nc_u64 s[8:9], s[12:13], s[14:15]
	s_lshl_b64 s[12:13], s[2:3], 3
	v_cmp_gt_u32_e64 s2, 30, v6
	s_lshl_b64 s[14:15], s[10:11], 3
	v_add_nc_u64_e32 v[4:5], s[12:13], v[4:5]
	v_cndmask_b32_e64 v7, 0, 2, s2
	v_cmp_ne_u32_e64 s2, 31, v6
	s_delay_alu instid0(VALU_DEP_2) | instskip(NEXT) | instid1(VALU_DEP_2)
	v_add_lshl_u32 v21, v7, v6, 2
	v_add_co_ci_u32_e64 v9, null, 0, v6, s2
	s_add_nc_u64 s[2:3], s[12:13], s[26:27]
	s_lshl_b64 s[26:27], s[30:31], 3
	s_add_nc_u64 s[2:3], s[4:5], s[2:3]
	v_lshl_add_u64 v[10:11], v[10:11], 3, s[8:9]
	v_add_nc_u64_e32 v[6:7], s[2:3], v[2:3]
	v_lshlrev_b32_e32 v2, 2, v9
	v_cmp_eq_u32_e64 s2, 0, v8
	v_mov_b64_e32 v[8:9], 0
	v_cmp_gt_u32_e64 s3, 16, v0
	s_lshl_b64 s[4:5], s[6:7], 3
	v_add_nc_u64_e32 v[6:7], 4, v[6:7]
	s_add_nc_u64 s[12:13], s[20:21], s[4:5]
	s_lshl_b64 s[20:21], s[18:19], 3
	s_branch .LBB35_3
.LBB35_2:                               ;   in Loop: Header=BB35_3 Depth=1
	s_wait_xcnt 0x0
	s_or_b32 exec_lo, exec_lo, s4
	s_add_co_i32 s24, s24, 0x10000
	s_delay_alu instid0(SALU_CYCLE_1)
	s_cmp_lt_u32 s24, s28
	s_cbranch_scc0 .LBB35_21
.LBB35_3:                               ; =>This Loop Header: Depth=1
                                        ;     Child Loop BB35_15 Depth 2
	s_wait_dscnt 0x0
	v_mov_b64_e32 v[12:13], 0
	s_and_saveexec_b32 s4, vcc_lo
	s_cbranch_execnz .LBB35_12
; %bb.4:                                ;   in Loop: Header=BB35_3 Depth=1
	s_or_b32 exec_lo, exec_lo, s4
	s_and_saveexec_b32 s5, s1
	s_cbranch_execnz .LBB35_13
.LBB35_5:                               ;   in Loop: Header=BB35_3 Depth=1
	s_or_b32 exec_lo, exec_lo, s5
	s_and_saveexec_b32 s4, s0
.LBB35_6:                               ;   in Loop: Header=BB35_3 Depth=1
	ds_store_b64 v18, v[8:9]
.LBB35_7:                               ;   in Loop: Header=BB35_3 Depth=1
	s_or_b32 exec_lo, exec_lo, s4
	ds_bpermute_b32 v14, v19, v12
	ds_bpermute_b32 v15, v19, v13
	s_wait_dscnt 0x0
	s_barrier_signal -1
	s_barrier_wait -1
	v_pk_add_f32 v[12:13], v[12:13], v[14:15]
	ds_bpermute_b32 v14, v20, v12
	ds_bpermute_b32 v15, v20, v13
	s_wait_dscnt 0x0
	v_pk_add_f32 v[12:13], v[12:13], v[14:15]
	ds_bpermute_b32 v14, v1, v12
	ds_bpermute_b32 v15, v1, v13
	s_wait_dscnt 0x0
	;; [unrolled: 4-line block ×3, first 2 shown]
	v_pk_add_f32 v[12:13], v[12:13], v[14:15]
	ds_bpermute_b32 v14, v2, v12
	ds_bpermute_b32 v15, v2, v13
	s_and_saveexec_b32 s4, s2
	s_cbranch_execz .LBB35_9
; %bb.8:                                ;   in Loop: Header=BB35_3 Depth=1
	s_wait_dscnt 0x0
	v_pk_add_f32 v[12:13], v[12:13], v[14:15]
	ds_store_b64 v22, v[12:13]
.LBB35_9:                               ;   in Loop: Header=BB35_3 Depth=1
	s_or_b32 exec_lo, exec_lo, s4
	v_mov_b64_e32 v[12:13], 0
	s_wait_dscnt 0x0
	s_barrier_signal -1
	s_barrier_wait -1
	s_and_saveexec_b32 s4, s3
	s_cbranch_execnz .LBB35_17
; %bb.10:                               ;   in Loop: Header=BB35_3 Depth=1
	s_or_b32 exec_lo, exec_lo, s4
	s_and_saveexec_b32 s4, s0
	s_cbranch_execnz .LBB35_18
.LBB35_11:                              ;   in Loop: Header=BB35_3 Depth=1
	s_or_b32 exec_lo, exec_lo, s4
	s_and_saveexec_b32 s4, vcc_lo
	s_cbranch_execz .LBB35_2
	s_branch .LBB35_19
.LBB35_12:                              ;   in Loop: Header=BB35_3 Depth=1
	s_mul_u64 s[30:31], s[10:11], s[24:25]
	s_delay_alu instid0(SALU_CYCLE_1) | instskip(SKIP_1) | instid1(SALU_CYCLE_1)
	v_lshl_add_u64 v[12:13], s[30:31], 3, v[4:5]
	s_mul_u64 s[30:31], s[18:19], s[24:25]
	s_lshl_b64 s[30:31], s[30:31], 3
	s_delay_alu instid0(SALU_CYCLE_1) | instskip(NEXT) | instid1(VALU_DEP_1)
	s_add_nc_u64 s[30:31], s[8:9], s[30:31]
	v_lshl_add_u64 v[12:13], s[6:7], 3, v[12:13]
	s_add_nc_u64 s[30:31], s[30:31], s[26:27]
	global_load_b64 v[14:15], v[12:13], off
	global_load_b64 v[16:17], v3, s[30:31]
	s_wait_loadcnt 0x0
	s_wait_xcnt 0x1
	v_pk_mul_f32 v[12:13], v[14:15], v[16:17] op_sel:[1,1] op_sel_hi:[1,0]
	s_delay_alu instid0(VALU_DEP_1) | instskip(SKIP_1) | instid1(VALU_DEP_2)
	v_pk_fma_f32 v[24:25], v[14:15], v[16:17], v[12:13] op_sel_hi:[0,1,1] neg_lo:[0,0,1] neg_hi:[0,0,1]
	v_pk_fma_f32 v[12:13], v[14:15], v[16:17], v[12:13]
	v_mov_b32_e32 v13, v25
	s_delay_alu instid0(VALU_DEP_1)
	v_pk_add_f32 v[12:13], v[12:13], 0 op_sel_hi:[1,0]
	s_wait_xcnt 0x0
	s_or_b32 exec_lo, exec_lo, s4
	s_and_saveexec_b32 s5, s1
	s_cbranch_execz .LBB35_5
.LBB35_13:                              ;   in Loop: Header=BB35_3 Depth=1
	v_mad_nc_u64_u32 v[14:15], s14, s24, v[6:7]
	v_mad_nc_u64_u32 v[16:17], s20, s24, v[10:11]
	v_mov_b32_e32 v23, v0
	s_mov_b32 s30, 0
	s_delay_alu instid0(VALU_DEP_3) | instskip(NEXT) | instid1(VALU_DEP_3)
	v_mad_u32 v15, s15, s24, v15
	v_mad_u32 v17, s21, s24, v17
	s_branch .LBB35_15
.LBB35_14:                              ;   in Loop: Header=BB35_15 Depth=2
	s_wait_xcnt 0x0
	s_or_b32 exec_lo, exec_lo, s31
	v_add_nc_u32_e32 v23, 0x200, v23
	s_delay_alu instid0(VALU_DEP_4) | instskip(NEXT) | instid1(VALU_DEP_4)
	v_add_nc_u64_e32 v[14:15], 0x1000, v[14:15]
	v_add_nc_u64_e32 v[16:17], s[16:17], v[16:17]
	s_delay_alu instid0(VALU_DEP_3) | instskip(SKIP_1) | instid1(SALU_CYCLE_1)
	v_cmp_le_i32_e64 s4, s29, v23
	s_or_b32 s30, s4, s30
	s_and_not1_b32 exec_lo, exec_lo, s30
	s_cbranch_execz .LBB35_20
.LBB35_15:                              ;   Parent Loop BB35_3 Depth=1
                                        ; =>  This Inner Loop Header: Depth=2
	s_mov_b32 s31, exec_lo
	v_cmpx_lt_i32_e64 s6, v23
	s_cbranch_execz .LBB35_14
; %bb.16:                               ;   in Loop: Header=BB35_15 Depth=2
	global_load_b64 v[24:25], v[14:15], off offset:-4
	global_load_b64 v[26:27], v[16:17], off
	s_wait_loadcnt 0x0
	v_pk_mul_f32 v[28:29], v[24:25], v[26:27] op_sel:[1,1] op_sel_hi:[1,0]
	s_delay_alu instid0(VALU_DEP_1) | instskip(SKIP_1) | instid1(VALU_DEP_2)
	v_pk_fma_f32 v[30:31], v[24:25], v[26:27], v[28:29] op_sel_hi:[0,1,1] neg_lo:[0,0,1] neg_hi:[0,0,1]
	v_pk_fma_f32 v[24:25], v[24:25], v[26:27], v[28:29]
	v_mov_b32_e32 v25, v31
	s_delay_alu instid0(VALU_DEP_1)
	v_pk_add_f32 v[12:13], v[12:13], v[24:25]
	s_branch .LBB35_14
.LBB35_17:                              ;   in Loop: Header=BB35_3 Depth=1
	ds_load_b64 v[12:13], v18
	s_or_b32 exec_lo, exec_lo, s4
	s_and_saveexec_b32 s4, s0
	s_cbranch_execz .LBB35_11
.LBB35_18:                              ;   in Loop: Header=BB35_3 Depth=1
	s_wait_dscnt 0x0
	ds_bpermute_b32 v14, v20, v12
	ds_bpermute_b32 v15, v20, v13
	s_wait_dscnt 0x0
	v_pk_add_f32 v[12:13], v[12:13], v[14:15]
	ds_bpermute_b32 v14, v1, v12
	ds_bpermute_b32 v15, v1, v13
	s_wait_dscnt 0x0
	v_pk_add_f32 v[12:13], v[12:13], v[14:15]
	;; [unrolled: 4-line block ×4, first 2 shown]
	s_or_b32 exec_lo, exec_lo, s4
	s_and_saveexec_b32 s4, vcc_lo
	s_cbranch_execz .LBB35_2
.LBB35_19:                              ;   in Loop: Header=BB35_3 Depth=1
	s_mul_u64 s[30:31], s[22:23], s[24:25]
	s_delay_alu instid0(SALU_CYCLE_1) | instskip(NEXT) | instid1(SALU_CYCLE_1)
	s_lshl_b64 s[30:31], s[30:31], 3
	s_add_nc_u64 s[30:31], s[12:13], s[30:31]
	s_wait_dscnt 0x0
	global_store_b64 v3, v[12:13], s[30:31]
	s_branch .LBB35_2
.LBB35_20:                              ;   in Loop: Header=BB35_3 Depth=1
	s_or_b32 exec_lo, exec_lo, s30
	s_delay_alu instid0(SALU_CYCLE_1)
	s_or_b32 exec_lo, exec_lo, s5
	s_and_saveexec_b32 s4, s0
	s_cbranch_execnz .LBB35_6
	s_branch .LBB35_7
.LBB35_21:
	s_endpgm
	.section	.rodata,"a",@progbits
	.p2align	6, 0x0
	.amdhsa_kernel _ZL20rocblas_trmvt_kernelILi512ELb1ELb1ELb0EPK19rocblas_complex_numIfEPS1_S4_EviT3_lllT4_lllT5_li
		.amdhsa_group_segment_fixed_size 256
		.amdhsa_private_segment_fixed_size 0
		.amdhsa_kernarg_size 92
		.amdhsa_user_sgpr_count 2
		.amdhsa_user_sgpr_dispatch_ptr 0
		.amdhsa_user_sgpr_queue_ptr 0
		.amdhsa_user_sgpr_kernarg_segment_ptr 1
		.amdhsa_user_sgpr_dispatch_id 0
		.amdhsa_user_sgpr_kernarg_preload_length 0
		.amdhsa_user_sgpr_kernarg_preload_offset 0
		.amdhsa_user_sgpr_private_segment_size 0
		.amdhsa_wavefront_size32 1
		.amdhsa_uses_dynamic_stack 0
		.amdhsa_enable_private_segment 0
		.amdhsa_system_sgpr_workgroup_id_x 1
		.amdhsa_system_sgpr_workgroup_id_y 0
		.amdhsa_system_sgpr_workgroup_id_z 1
		.amdhsa_system_sgpr_workgroup_info 0
		.amdhsa_system_vgpr_workitem_id 0
		.amdhsa_next_free_vgpr 32
		.amdhsa_next_free_sgpr 32
		.amdhsa_named_barrier_count 0
		.amdhsa_reserve_vcc 1
		.amdhsa_float_round_mode_32 0
		.amdhsa_float_round_mode_16_64 0
		.amdhsa_float_denorm_mode_32 3
		.amdhsa_float_denorm_mode_16_64 3
		.amdhsa_fp16_overflow 0
		.amdhsa_memory_ordered 1
		.amdhsa_forward_progress 1
		.amdhsa_inst_pref_size 10
		.amdhsa_round_robin_scheduling 0
		.amdhsa_exception_fp_ieee_invalid_op 0
		.amdhsa_exception_fp_denorm_src 0
		.amdhsa_exception_fp_ieee_div_zero 0
		.amdhsa_exception_fp_ieee_overflow 0
		.amdhsa_exception_fp_ieee_underflow 0
		.amdhsa_exception_fp_ieee_inexact 0
		.amdhsa_exception_int_div_zero 0
	.end_amdhsa_kernel
	.section	.text._ZL20rocblas_trmvt_kernelILi512ELb1ELb1ELb0EPK19rocblas_complex_numIfEPS1_S4_EviT3_lllT4_lllT5_li,"axG",@progbits,_ZL20rocblas_trmvt_kernelILi512ELb1ELb1ELb0EPK19rocblas_complex_numIfEPS1_S4_EviT3_lllT4_lllT5_li,comdat
.Lfunc_end35:
	.size	_ZL20rocblas_trmvt_kernelILi512ELb1ELb1ELb0EPK19rocblas_complex_numIfEPS1_S4_EviT3_lllT4_lllT5_li, .Lfunc_end35-_ZL20rocblas_trmvt_kernelILi512ELb1ELb1ELb0EPK19rocblas_complex_numIfEPS1_S4_EviT3_lllT4_lllT5_li
                                        ; -- End function
	.set _ZL20rocblas_trmvt_kernelILi512ELb1ELb1ELb0EPK19rocblas_complex_numIfEPS1_S4_EviT3_lllT4_lllT5_li.num_vgpr, 32
	.set _ZL20rocblas_trmvt_kernelILi512ELb1ELb1ELb0EPK19rocblas_complex_numIfEPS1_S4_EviT3_lllT4_lllT5_li.num_agpr, 0
	.set _ZL20rocblas_trmvt_kernelILi512ELb1ELb1ELb0EPK19rocblas_complex_numIfEPS1_S4_EviT3_lllT4_lllT5_li.numbered_sgpr, 32
	.set _ZL20rocblas_trmvt_kernelILi512ELb1ELb1ELb0EPK19rocblas_complex_numIfEPS1_S4_EviT3_lllT4_lllT5_li.num_named_barrier, 0
	.set _ZL20rocblas_trmvt_kernelILi512ELb1ELb1ELb0EPK19rocblas_complex_numIfEPS1_S4_EviT3_lllT4_lllT5_li.private_seg_size, 0
	.set _ZL20rocblas_trmvt_kernelILi512ELb1ELb1ELb0EPK19rocblas_complex_numIfEPS1_S4_EviT3_lllT4_lllT5_li.uses_vcc, 1
	.set _ZL20rocblas_trmvt_kernelILi512ELb1ELb1ELb0EPK19rocblas_complex_numIfEPS1_S4_EviT3_lllT4_lllT5_li.uses_flat_scratch, 0
	.set _ZL20rocblas_trmvt_kernelILi512ELb1ELb1ELb0EPK19rocblas_complex_numIfEPS1_S4_EviT3_lllT4_lllT5_li.has_dyn_sized_stack, 0
	.set _ZL20rocblas_trmvt_kernelILi512ELb1ELb1ELb0EPK19rocblas_complex_numIfEPS1_S4_EviT3_lllT4_lllT5_li.has_recursion, 0
	.set _ZL20rocblas_trmvt_kernelILi512ELb1ELb1ELb0EPK19rocblas_complex_numIfEPS1_S4_EviT3_lllT4_lllT5_li.has_indirect_call, 0
	.section	.AMDGPU.csdata,"",@progbits
; Kernel info:
; codeLenInByte = 1272
; TotalNumSgprs: 34
; NumVgprs: 32
; ScratchSize: 0
; MemoryBound: 0
; FloatMode: 240
; IeeeMode: 1
; LDSByteSize: 256 bytes/workgroup (compile time only)
; SGPRBlocks: 0
; VGPRBlocks: 1
; NumSGPRsForWavesPerEU: 34
; NumVGPRsForWavesPerEU: 32
; NamedBarCnt: 0
; Occupancy: 16
; WaveLimiterHint : 0
; COMPUTE_PGM_RSRC2:SCRATCH_EN: 0
; COMPUTE_PGM_RSRC2:USER_SGPR: 2
; COMPUTE_PGM_RSRC2:TRAP_HANDLER: 0
; COMPUTE_PGM_RSRC2:TGID_X_EN: 1
; COMPUTE_PGM_RSRC2:TGID_Y_EN: 0
; COMPUTE_PGM_RSRC2:TGID_Z_EN: 1
; COMPUTE_PGM_RSRC2:TIDIG_COMP_CNT: 0
	.section	.text._ZL20rocblas_trmvn_kernelILi64ELi16ELb0ELb1EPK19rocblas_complex_numIdEPS1_S4_EviT3_lllT4_lllT5_li,"axG",@progbits,_ZL20rocblas_trmvn_kernelILi64ELi16ELb0ELb1EPK19rocblas_complex_numIdEPS1_S4_EviT3_lllT4_lllT5_li,comdat
	.globl	_ZL20rocblas_trmvn_kernelILi64ELi16ELb0ELb1EPK19rocblas_complex_numIdEPS1_S4_EviT3_lllT4_lllT5_li ; -- Begin function _ZL20rocblas_trmvn_kernelILi64ELi16ELb0ELb1EPK19rocblas_complex_numIdEPS1_S4_EviT3_lllT4_lllT5_li
	.p2align	8
	.type	_ZL20rocblas_trmvn_kernelILi64ELi16ELb0ELb1EPK19rocblas_complex_numIdEPS1_S4_EviT3_lllT4_lllT5_li,@function
_ZL20rocblas_trmvn_kernelILi64ELi16ELb0ELb1EPK19rocblas_complex_numIdEPS1_S4_EviT3_lllT4_lllT5_li: ; @_ZL20rocblas_trmvn_kernelILi64ELi16ELb0ELb1EPK19rocblas_complex_numIdEPS1_S4_EviT3_lllT4_lllT5_li
; %bb.0:
	s_load_b32 s3, s[0:1], 0x58
	s_bfe_u32 s2, ttmp6, 0x40014
	s_lshr_b32 s4, ttmp7, 16
	s_add_co_i32 s2, s2, 1
	s_bfe_u32 s6, ttmp6, 0x40008
	s_mul_i32 s5, s4, s2
	s_getreg_b32 s2, hwreg(HW_REG_IB_STS2, 6, 4)
	s_add_co_i32 s6, s6, s5
	s_cmp_eq_u32 s2, 0
	s_mov_b32 s25, 0
	s_cselect_b32 s24, s4, s6
	s_wait_kmcnt 0x0
	s_cmp_ge_u32 s24, s3
	s_cbranch_scc1 .LBB36_14
; %bb.1:
	s_clause 0x1
	s_load_b512 s[4:19], s[0:1], 0x8
	s_load_b32 s20, s[0:1], 0x6c
	v_and_b32_e32 v12, 0x3ff, v0
	v_bfe_u32 v4, v0, 10, 10
	s_delay_alu instid0(VALU_DEP_2) | instskip(NEXT) | instid1(VALU_DEP_2)
	v_lshlrev_b32_e32 v16, 4, v12
	v_lshlrev_b32_e32 v17, 10, v4
	s_wait_kmcnt 0x0
	s_lshl_b64 s[26:27], s[14:15], 4
	s_bfe_u32 s14, ttmp6, 0x4000c
	s_and_b32 s15, s20, 0xffff
	s_add_co_i32 s14, s14, 1
	s_and_b32 s20, ttmp6, 15
	s_mul_i32 s14, ttmp9, s14
	s_delay_alu instid0(SALU_CYCLE_1)
	s_add_co_i32 s20, s20, s14
	s_cmp_eq_u32 s2, 0
	s_load_b32 s14, s[0:1], 0x0
	s_cselect_b32 s2, ttmp9, s20
	s_load_b128 s[20:23], s[0:1], 0x48
	v_lshl_add_u32 v6, s2, 6, v12
	v_mov_b32_e32 v5, 0
	s_wait_xcnt 0x0
	s_lshl_b64 s[0:1], s[6:7], 4
	s_add_nc_u64 s[6:7], s[12:13], s[26:27]
	s_lshl_b64 s[12:13], s[16:17], 8
	v_ashrrev_i32_e32 v7, 31, v6
	v_mul_u64_e32 v[2:3], s[8:9], v[4:5]
	v_mul_u64_e32 v[0:1], s[16:17], v[4:5]
	v_mul_u32_u24_e32 v5, s15, v4
	s_lshl_b64 s[10:11], s[10:11], 4
	v_mul_u64_e32 v[8:9], s[16:17], v[6:7]
	v_lshlrev_b64_e32 v[10:11], 4, v[6:7]
	v_mad_u32_u24 v7, v4, s15, v12
	v_lshl_add_u32 v5, v5, 4, v16
	s_lshl_b64 s[8:9], s[8:9], 8
	s_wait_kmcnt 0x0
	v_cmp_gt_i32_e32 vcc_lo, s14, v6
	v_lshl_add_u64 v[2:3], v[2:3], 4, s[0:1]
	v_lshl_add_u64 v[0:1], v[0:1], 4, s[6:7]
	v_cmp_eq_u32_e64 s0, 0, v4
	v_cmp_gt_u32_e64 s1, 64, v7
	v_add_nc_u32_e32 v7, v16, v17
	v_add_nc_u64_e32 v[2:3], v[2:3], v[10:11]
	v_add_nc_u64_e32 v[10:11], s[20:21], v[10:11]
	;; [unrolled: 1-line block ×3, first 2 shown]
	s_and_b32 s15, s0, vcc_lo
	v_cmp_gt_i32_e64 s0, s14, v4
	s_delay_alu instid0(VALU_DEP_4) | instskip(SKIP_1) | instid1(VALU_DEP_1)
	v_add_nc_u64_e32 v[2:3], s[4:5], v[2:3]
	s_lshl_b64 s[4:5], s[18:19], 4
	v_add_nc_u64_e32 v[14:15], 8, v[2:3]
	s_branch .LBB36_3
.LBB36_2:                               ;   in Loop: Header=BB36_3 Depth=1
	s_wait_xcnt 0x0
	s_or_b32 exec_lo, exec_lo, s2
	s_add_co_i32 s24, s24, 0x10000
	s_delay_alu instid0(SALU_CYCLE_1)
	s_cmp_lt_u32 s24, s3
	s_cbranch_scc0 .LBB36_14
.LBB36_3:                               ; =>This Loop Header: Depth=1
                                        ;     Child Loop BB36_8 Depth 2
	v_mov_b64_e32 v[0:1], 0
	v_mov_b64_e32 v[2:3], 0
	s_and_saveexec_b32 s2, s15
	s_cbranch_execz .LBB36_5
; %bb.4:                                ;   in Loop: Header=BB36_3 Depth=1
	s_mul_u64 s[16:17], s[18:19], s[24:25]
	s_delay_alu instid0(SALU_CYCLE_1) | instskip(NEXT) | instid1(SALU_CYCLE_1)
	s_lshl_b64 s[16:17], s[16:17], 4
	s_add_nc_u64 s[16:17], s[6:7], s[16:17]
	s_delay_alu instid0(SALU_CYCLE_1)
	v_lshl_add_u64 v[0:1], v[8:9], 4, s[16:17]
	global_load_b128 v[0:3], v[0:1], off
.LBB36_5:                               ;   in Loop: Header=BB36_3 Depth=1
	s_wait_xcnt 0x0
	s_or_b32 exec_lo, exec_lo, s2
	s_and_saveexec_b32 s16, s0
	s_cbranch_execz .LBB36_11
; %bb.6:                                ;   in Loop: Header=BB36_3 Depth=1
	v_mad_nc_u64_u32 v[16:17], s4, s24, v[12:13]
	v_mad_nc_u64_u32 v[18:19], s10, s24, v[14:15]
	v_mov_b32_e32 v20, v4
	s_mov_b32 s17, 0
	s_delay_alu instid0(VALU_DEP_3) | instskip(NEXT) | instid1(VALU_DEP_3)
	v_mad_u32 v17, s5, s24, v17
	v_mad_u32 v19, s11, s24, v19
	s_branch .LBB36_8
.LBB36_7:                               ;   in Loop: Header=BB36_8 Depth=2
	s_wait_xcnt 0x0
	s_or_b32 exec_lo, exec_lo, s20
	v_add_nc_u32_e32 v20, 16, v20
	s_delay_alu instid0(VALU_DEP_4) | instskip(NEXT) | instid1(VALU_DEP_4)
	v_add_nc_u64_e32 v[16:17], s[12:13], v[16:17]
	v_add_nc_u64_e32 v[18:19], s[8:9], v[18:19]
	s_delay_alu instid0(VALU_DEP_3) | instskip(SKIP_1) | instid1(SALU_CYCLE_1)
	v_cmp_le_i32_e64 s2, s14, v20
	s_or_b32 s17, s2, s17
	s_and_not1_b32 exec_lo, exec_lo, s17
	s_cbranch_execz .LBB36_10
.LBB36_8:                               ;   Parent Loop BB36_3 Depth=1
                                        ; =>  This Inner Loop Header: Depth=2
	s_mov_b32 s20, exec_lo
	v_cmpx_gt_i32_e64 v20, v6
	s_cbranch_execz .LBB36_7
; %bb.9:                                ;   in Loop: Header=BB36_8 Depth=2
	global_load_b128 v[22:25], v[16:17], off offset:-8
	global_load_b128 v[26:29], v[18:19], off offset:-8
	s_wait_loadcnt 0x0
	v_mul_f64_e32 v[30:31], v[24:25], v[28:29]
	v_mul_f64_e32 v[28:29], v[22:23], v[28:29]
	s_delay_alu instid0(VALU_DEP_2) | instskip(NEXT) | instid1(VALU_DEP_2)
	v_fma_f64 v[22:23], v[22:23], v[26:27], -v[30:31]
	v_fmac_f64_e32 v[28:29], v[24:25], v[26:27]
	s_delay_alu instid0(VALU_DEP_2) | instskip(NEXT) | instid1(VALU_DEP_2)
	v_add_f64_e32 v[0:1], v[0:1], v[22:23]
	v_add_f64_e32 v[2:3], v[2:3], v[28:29]
	s_branch .LBB36_7
.LBB36_10:                              ;   in Loop: Header=BB36_3 Depth=1
	s_or_b32 exec_lo, exec_lo, s17
.LBB36_11:                              ;   in Loop: Header=BB36_3 Depth=1
	s_delay_alu instid0(SALU_CYCLE_1)
	s_or_b32 exec_lo, exec_lo, s16
	s_wait_loadcnt 0x0
	ds_store_b128 v7, v[0:3]
	s_wait_dscnt 0x0
	s_barrier_signal -1
	s_barrier_wait -1
	s_and_saveexec_b32 s2, s1
	s_cbranch_execz .LBB36_2
; %bb.12:                               ;   in Loop: Header=BB36_3 Depth=1
	ds_load_b128 v[0:3], v5
	ds_load_b128 v[16:19], v5 offset:1024
	s_wait_dscnt 0x0
	v_add_f64_e32 v[20:21], v[0:1], v[16:17]
	v_add_f64_e32 v[22:23], v[2:3], v[18:19]
	ds_load_b128 v[0:3], v5 offset:2048
	ds_load_b128 v[16:19], v5 offset:3072
	s_wait_dscnt 0x1
	v_add_f64_e32 v[0:1], v[20:21], v[0:1]
	v_add_f64_e32 v[2:3], v[22:23], v[2:3]
	s_wait_dscnt 0x0
	s_delay_alu instid0(VALU_DEP_2) | instskip(NEXT) | instid1(VALU_DEP_2)
	v_add_f64_e32 v[20:21], v[0:1], v[16:17]
	v_add_f64_e32 v[22:23], v[2:3], v[18:19]
	ds_load_b128 v[0:3], v5 offset:4096
	ds_load_b128 v[16:19], v5 offset:5120
	s_wait_dscnt 0x1
	v_add_f64_e32 v[0:1], v[20:21], v[0:1]
	v_add_f64_e32 v[2:3], v[22:23], v[2:3]
	s_wait_dscnt 0x0
	s_delay_alu instid0(VALU_DEP_2) | instskip(NEXT) | instid1(VALU_DEP_2)
	;; [unrolled: 9-line block ×7, first 2 shown]
	v_add_f64_e32 v[0:1], v[0:1], v[16:17]
	v_add_f64_e32 v[2:3], v[2:3], v[18:19]
	ds_store_b128 v5, v[0:3]
	s_and_b32 exec_lo, exec_lo, vcc_lo
	s_cbranch_execz .LBB36_2
; %bb.13:                               ;   in Loop: Header=BB36_3 Depth=1
	ds_load_2addr_b64 v[0:3], v5 offset1:1
	s_mul_u64 s[16:17], s[22:23], s[24:25]
	s_delay_alu instid0(SALU_CYCLE_1)
	v_lshl_add_u64 v[16:17], s[16:17], 4, v[10:11]
	s_wait_dscnt 0x0
	global_store_b128 v[16:17], v[0:3], off
	s_branch .LBB36_2
.LBB36_14:
	s_endpgm
	.section	.rodata,"a",@progbits
	.p2align	6, 0x0
	.amdhsa_kernel _ZL20rocblas_trmvn_kernelILi64ELi16ELb0ELb1EPK19rocblas_complex_numIdEPS1_S4_EviT3_lllT4_lllT5_li
		.amdhsa_group_segment_fixed_size 16384
		.amdhsa_private_segment_fixed_size 0
		.amdhsa_kernarg_size 352
		.amdhsa_user_sgpr_count 2
		.amdhsa_user_sgpr_dispatch_ptr 0
		.amdhsa_user_sgpr_queue_ptr 0
		.amdhsa_user_sgpr_kernarg_segment_ptr 1
		.amdhsa_user_sgpr_dispatch_id 0
		.amdhsa_user_sgpr_kernarg_preload_length 0
		.amdhsa_user_sgpr_kernarg_preload_offset 0
		.amdhsa_user_sgpr_private_segment_size 0
		.amdhsa_wavefront_size32 1
		.amdhsa_uses_dynamic_stack 0
		.amdhsa_enable_private_segment 0
		.amdhsa_system_sgpr_workgroup_id_x 1
		.amdhsa_system_sgpr_workgroup_id_y 0
		.amdhsa_system_sgpr_workgroup_id_z 1
		.amdhsa_system_sgpr_workgroup_info 0
		.amdhsa_system_vgpr_workitem_id 1
		.amdhsa_next_free_vgpr 32
		.amdhsa_next_free_sgpr 28
		.amdhsa_named_barrier_count 0
		.amdhsa_reserve_vcc 1
		.amdhsa_float_round_mode_32 0
		.amdhsa_float_round_mode_16_64 0
		.amdhsa_float_denorm_mode_32 3
		.amdhsa_float_denorm_mode_16_64 3
		.amdhsa_fp16_overflow 0
		.amdhsa_memory_ordered 1
		.amdhsa_forward_progress 1
		.amdhsa_inst_pref_size 9
		.amdhsa_round_robin_scheduling 0
		.amdhsa_exception_fp_ieee_invalid_op 0
		.amdhsa_exception_fp_denorm_src 0
		.amdhsa_exception_fp_ieee_div_zero 0
		.amdhsa_exception_fp_ieee_overflow 0
		.amdhsa_exception_fp_ieee_underflow 0
		.amdhsa_exception_fp_ieee_inexact 0
		.amdhsa_exception_int_div_zero 0
	.end_amdhsa_kernel
	.section	.text._ZL20rocblas_trmvn_kernelILi64ELi16ELb0ELb1EPK19rocblas_complex_numIdEPS1_S4_EviT3_lllT4_lllT5_li,"axG",@progbits,_ZL20rocblas_trmvn_kernelILi64ELi16ELb0ELb1EPK19rocblas_complex_numIdEPS1_S4_EviT3_lllT4_lllT5_li,comdat
.Lfunc_end36:
	.size	_ZL20rocblas_trmvn_kernelILi64ELi16ELb0ELb1EPK19rocblas_complex_numIdEPS1_S4_EviT3_lllT4_lllT5_li, .Lfunc_end36-_ZL20rocblas_trmvn_kernelILi64ELi16ELb0ELb1EPK19rocblas_complex_numIdEPS1_S4_EviT3_lllT4_lllT5_li
                                        ; -- End function
	.set _ZL20rocblas_trmvn_kernelILi64ELi16ELb0ELb1EPK19rocblas_complex_numIdEPS1_S4_EviT3_lllT4_lllT5_li.num_vgpr, 32
	.set _ZL20rocblas_trmvn_kernelILi64ELi16ELb0ELb1EPK19rocblas_complex_numIdEPS1_S4_EviT3_lllT4_lllT5_li.num_agpr, 0
	.set _ZL20rocblas_trmvn_kernelILi64ELi16ELb0ELb1EPK19rocblas_complex_numIdEPS1_S4_EviT3_lllT4_lllT5_li.numbered_sgpr, 28
	.set _ZL20rocblas_trmvn_kernelILi64ELi16ELb0ELb1EPK19rocblas_complex_numIdEPS1_S4_EviT3_lllT4_lllT5_li.num_named_barrier, 0
	.set _ZL20rocblas_trmvn_kernelILi64ELi16ELb0ELb1EPK19rocblas_complex_numIdEPS1_S4_EviT3_lllT4_lllT5_li.private_seg_size, 0
	.set _ZL20rocblas_trmvn_kernelILi64ELi16ELb0ELb1EPK19rocblas_complex_numIdEPS1_S4_EviT3_lllT4_lllT5_li.uses_vcc, 1
	.set _ZL20rocblas_trmvn_kernelILi64ELi16ELb0ELb1EPK19rocblas_complex_numIdEPS1_S4_EviT3_lllT4_lllT5_li.uses_flat_scratch, 0
	.set _ZL20rocblas_trmvn_kernelILi64ELi16ELb0ELb1EPK19rocblas_complex_numIdEPS1_S4_EviT3_lllT4_lllT5_li.has_dyn_sized_stack, 0
	.set _ZL20rocblas_trmvn_kernelILi64ELi16ELb0ELb1EPK19rocblas_complex_numIdEPS1_S4_EviT3_lllT4_lllT5_li.has_recursion, 0
	.set _ZL20rocblas_trmvn_kernelILi64ELi16ELb0ELb1EPK19rocblas_complex_numIdEPS1_S4_EviT3_lllT4_lllT5_li.has_indirect_call, 0
	.section	.AMDGPU.csdata,"",@progbits
; Kernel info:
; codeLenInByte = 1072
; TotalNumSgprs: 30
; NumVgprs: 32
; ScratchSize: 0
; MemoryBound: 1
; FloatMode: 240
; IeeeMode: 1
; LDSByteSize: 16384 bytes/workgroup (compile time only)
; SGPRBlocks: 0
; VGPRBlocks: 1
; NumSGPRsForWavesPerEU: 30
; NumVGPRsForWavesPerEU: 32
; NamedBarCnt: 0
; Occupancy: 16
; WaveLimiterHint : 0
; COMPUTE_PGM_RSRC2:SCRATCH_EN: 0
; COMPUTE_PGM_RSRC2:USER_SGPR: 2
; COMPUTE_PGM_RSRC2:TRAP_HANDLER: 0
; COMPUTE_PGM_RSRC2:TGID_X_EN: 1
; COMPUTE_PGM_RSRC2:TGID_Y_EN: 0
; COMPUTE_PGM_RSRC2:TGID_Z_EN: 1
; COMPUTE_PGM_RSRC2:TIDIG_COMP_CNT: 1
	.section	.text._ZL20rocblas_trmvt_kernelILi512ELb0ELb0ELb1EPK19rocblas_complex_numIdEPS1_S4_EviT3_lllT4_lllT5_li,"axG",@progbits,_ZL20rocblas_trmvt_kernelILi512ELb0ELb0ELb1EPK19rocblas_complex_numIdEPS1_S4_EviT3_lllT4_lllT5_li,comdat
	.globl	_ZL20rocblas_trmvt_kernelILi512ELb0ELb0ELb1EPK19rocblas_complex_numIdEPS1_S4_EviT3_lllT4_lllT5_li ; -- Begin function _ZL20rocblas_trmvt_kernelILi512ELb0ELb0ELb1EPK19rocblas_complex_numIdEPS1_S4_EviT3_lllT4_lllT5_li
	.p2align	8
	.type	_ZL20rocblas_trmvt_kernelILi512ELb0ELb0ELb1EPK19rocblas_complex_numIdEPS1_S4_EviT3_lllT4_lllT5_li,@function
_ZL20rocblas_trmvt_kernelILi512ELb0ELb0ELb1EPK19rocblas_complex_numIdEPS1_S4_EviT3_lllT4_lllT5_li: ; @_ZL20rocblas_trmvt_kernelILi512ELb0ELb0ELb1EPK19rocblas_complex_numIdEPS1_S4_EviT3_lllT4_lllT5_li
; %bb.0:
	s_load_b32 s26, s[0:1], 0x58
	s_bfe_u32 s2, ttmp6, 0x40014
	s_lshr_b32 s4, ttmp7, 16
	s_add_co_i32 s2, s2, 1
	s_bfe_u32 s5, ttmp6, 0x40008
	s_mul_i32 s2, s4, s2
	s_getreg_b32 s3, hwreg(HW_REG_IB_STS2, 6, 4)
	s_add_co_i32 s5, s5, s2
	s_cmp_eq_u32 s3, 0
	s_mov_b32 s25, 0
	s_cselect_b32 s24, s4, s5
	s_wait_kmcnt 0x0
	s_cmp_ge_u32 s24, s26
	s_cbranch_scc1 .LBB37_21
; %bb.1:
	s_clause 0x2
	s_load_b512 s[4:19], s[0:1], 0x8
	s_load_b32 s27, s[0:1], 0x0
	s_load_b128 s[20:23], s[0:1], 0x48
	v_dual_mov_b32 v2, 0 :: v_dual_bitop2_b32 v3, 31, v0 bitop3:0x40
	v_mbcnt_lo_u32_b32 v8, -1, 0
	s_wait_xcnt 0x0
	s_bfe_u32 s1, ttmp6, 0x4000c
	s_delay_alu instid0(VALU_DEP_2)
	v_dual_mov_b32 v1, v2 :: v_dual_lshrrev_b32 v6, 1, v0
	s_add_co_i32 s2, s1, 1
	s_and_b32 s28, ttmp6, 15
	s_mul_i32 s29, ttmp9, s2
	v_cmp_gt_u32_e64 s2, 24, v8
	s_add_co_i32 s30, s28, s29
	v_and_b32_e32 v17, 0xf0, v6
	v_lshl_or_b32 v16, v8, 2, 64
	v_cmp_gt_u32_e64 s0, 32, v0
	v_cndmask_b32_e64 v9, 0, 8, s2
	v_cmp_gt_u32_e64 s2, 28, v8
	v_cmp_gt_u32_e64 s1, 16, v0
	s_wait_kmcnt 0x0
	v_mul_u64_e32 v[4:5], s[16:17], v[0:1]
	s_lshl_b64 s[28:29], s[14:15], 4
	s_cmp_eq_u32 s3, 0
	v_cndmask_b32_e64 v10, 0, 4, s2
	v_cmp_gt_u32_e64 s2, 30, v8
	v_cmp_gt_i32_e64 s3, s27, v0
	s_cselect_b32 s14, ttmp9, s30
	v_dual_lshlrev_b32 v1, 4, v3 :: v_dual_mov_b32 v7, v2
	v_cndmask_b32_e64 v11, 0, 2, s2
	v_cmp_ne_u32_e64 s2, 31, v8
	s_ashr_i32 s15, s14, 31
	s_lshl_b64 s[6:7], s[6:7], 4
	s_mul_u64 s[8:9], s[8:9], s[14:15]
	v_add_lshl_u32 v18, v9, v8, 2
	v_add_co_ci_u32_e64 v12, null, 0, v8, s2
	v_cmp_eq_u32_e64 s2, 0, v3
	v_cndmask_b32_e64 v3, 0, v0, s3
	s_lshl_b64 s[8:9], s[8:9], 4
	v_lshlrev_b32_e32 v21, 2, v12
	s_add_nc_u64 s[6:7], s[8:9], s[6:7]
	v_add_lshl_u32 v19, v10, v8, 2
	v_lshlrev_b32_e32 v6, 4, v3
	s_add_nc_u64 s[4:5], s[4:5], s[6:7]
	s_add_nc_u64 s[6:7], s[12:13], s[28:29]
	v_add_lshl_u32 v20, v11, v8, 2
	s_lshl_b64 s[8:9], s[14:15], 4
	v_add_nc_u64_e32 v[6:7], s[4:5], v[6:7]
	s_mul_u64 s[4:5], s[16:17], s[14:15]
	s_add_nc_u64 s[8:9], s[20:21], s[8:9]
	s_lshl_b64 s[12:13], s[18:19], 4
	v_lshl_add_u64 v[4:5], v[4:5], 4, s[6:7]
	s_lshl_b64 s[16:17], s[16:17], 13
	s_lshl_b64 s[10:11], s[10:11], 4
	v_add_nc_u64_e32 v[10:11], 8, v[6:7]
	s_lshl_b64 s[20:21], s[4:5], 4
	v_add_nc_u64_e32 v[8:9], 8, v[4:5]
	v_cmp_eq_u32_e32 vcc_lo, 0, v0
	s_branch .LBB37_3
.LBB37_2:                               ;   in Loop: Header=BB37_3 Depth=1
	s_wait_xcnt 0x0
	s_or_b32 exec_lo, exec_lo, s4
	s_add_co_i32 s24, s24, 0x10000
	s_delay_alu instid0(SALU_CYCLE_1)
	s_cmp_lt_u32 s24, s26
	s_cbranch_scc0 .LBB37_21
.LBB37_3:                               ; =>This Loop Header: Depth=1
                                        ;     Child Loop BB37_15 Depth 2
	v_mov_b64_e32 v[12:13], 0
	s_wait_dscnt 0x0
	v_mov_b64_e32 v[6:7], 0
	s_and_saveexec_b32 s4, vcc_lo
	s_cbranch_execnz .LBB37_12
; %bb.4:                                ;   in Loop: Header=BB37_3 Depth=1
	s_or_b32 exec_lo, exec_lo, s4
	s_and_saveexec_b32 s5, s3
	s_cbranch_execnz .LBB37_13
.LBB37_5:                               ;   in Loop: Header=BB37_3 Depth=1
	s_or_b32 exec_lo, exec_lo, s5
	s_and_saveexec_b32 s4, s0
.LBB37_6:                               ;   in Loop: Header=BB37_3 Depth=1
	v_dual_mov_b32 v3, v2 :: v_dual_mov_b32 v4, v2
	v_mov_b32_e32 v5, v2
	ds_store_b128 v1, v[2:5]
.LBB37_7:                               ;   in Loop: Header=BB37_3 Depth=1
	s_or_b32 exec_lo, exec_lo, s4
	ds_bpermute_b32 v4, v16, v12
	ds_bpermute_b32 v5, v16, v13
	;; [unrolled: 1-line block ×4, first 2 shown]
	s_wait_dscnt 0x0
	s_barrier_signal -1
	s_barrier_wait -1
	v_add_f64_e32 v[4:5], v[12:13], v[4:5]
	v_add_f64_e32 v[6:7], v[6:7], v[14:15]
	ds_bpermute_b32 v12, v18, v4
	ds_bpermute_b32 v13, v18, v5
	ds_bpermute_b32 v14, v18, v6
	ds_bpermute_b32 v15, v18, v7
	s_wait_dscnt 0x2
	v_add_f64_e32 v[4:5], v[4:5], v[12:13]
	s_wait_dscnt 0x0
	v_add_f64_e32 v[6:7], v[6:7], v[14:15]
	ds_bpermute_b32 v12, v19, v4
	ds_bpermute_b32 v13, v19, v5
	ds_bpermute_b32 v14, v19, v6
	ds_bpermute_b32 v15, v19, v7
	s_wait_dscnt 0x2
	v_add_f64_e32 v[4:5], v[4:5], v[12:13]
	s_wait_dscnt 0x0
	;; [unrolled: 8-line block ×3, first 2 shown]
	v_add_f64_e32 v[12:13], v[6:7], v[14:15]
	ds_bpermute_b32 v6, v21, v4
	ds_bpermute_b32 v7, v21, v5
	;; [unrolled: 1-line block ×4, first 2 shown]
	s_and_saveexec_b32 s4, s2
	s_cbranch_execz .LBB37_9
; %bb.8:                                ;   in Loop: Header=BB37_3 Depth=1
	s_wait_dscnt 0x0
	v_add_f64_e32 v[14:15], v[12:13], v[14:15]
	v_add_f64_e32 v[12:13], v[4:5], v[6:7]
	ds_store_b128 v17, v[12:15]
.LBB37_9:                               ;   in Loop: Header=BB37_3 Depth=1
	s_or_b32 exec_lo, exec_lo, s4
	s_wait_dscnt 0x2
	v_mov_b64_e32 v[6:7], 0
	v_mov_b64_e32 v[4:5], 0
	s_wait_dscnt 0x0
	s_barrier_signal -1
	s_barrier_wait -1
	s_and_saveexec_b32 s4, s1
	s_cbranch_execnz .LBB37_17
; %bb.10:                               ;   in Loop: Header=BB37_3 Depth=1
	s_or_b32 exec_lo, exec_lo, s4
	s_and_saveexec_b32 s4, s0
	s_cbranch_execnz .LBB37_18
.LBB37_11:                              ;   in Loop: Header=BB37_3 Depth=1
	s_or_b32 exec_lo, exec_lo, s4
	s_and_saveexec_b32 s4, vcc_lo
	s_cbranch_execz .LBB37_2
	s_branch .LBB37_19
.LBB37_12:                              ;   in Loop: Header=BB37_3 Depth=1
	s_mul_u64 s[28:29], s[18:19], s[24:25]
	s_delay_alu instid0(SALU_CYCLE_1) | instskip(NEXT) | instid1(SALU_CYCLE_1)
	s_lshl_b64 s[28:29], s[28:29], 4
	s_add_nc_u64 s[28:29], s[6:7], s[28:29]
	s_delay_alu instid0(SALU_CYCLE_1)
	s_add_nc_u64 s[28:29], s[28:29], s[20:21]
	global_load_b128 v[4:7], v2, s[28:29]
	s_wait_loadcnt 0x0
	v_add_f64_e32 v[12:13], 0, v[4:5]
	v_add_f64_e32 v[6:7], 0, v[6:7]
	s_wait_xcnt 0x0
	s_or_b32 exec_lo, exec_lo, s4
	s_and_saveexec_b32 s5, s3
	s_cbranch_execz .LBB37_5
.LBB37_13:                              ;   in Loop: Header=BB37_3 Depth=1
	v_mad_nc_u64_u32 v[4:5], s12, s24, v[8:9]
	v_mad_nc_u64_u32 v[14:15], s10, s24, v[10:11]
	v_mov_b32_e32 v3, v0
	s_mov_b32 s15, 0
	s_delay_alu instid0(VALU_DEP_3) | instskip(NEXT) | instid1(VALU_DEP_3)
	v_mad_u32 v5, s13, s24, v5
	v_mad_u32 v15, s11, s24, v15
	s_branch .LBB37_15
.LBB37_14:                              ;   in Loop: Header=BB37_15 Depth=2
	s_wait_xcnt 0x0
	s_or_b32 exec_lo, exec_lo, s28
	v_add_nc_u32_e32 v3, 0x200, v3
	s_delay_alu instid0(VALU_DEP_4) | instskip(NEXT) | instid1(VALU_DEP_4)
	v_add_nc_u64_e32 v[4:5], s[16:17], v[4:5]
	v_add_nc_u64_e32 v[14:15], 0x2000, v[14:15]
	s_delay_alu instid0(VALU_DEP_3) | instskip(SKIP_1) | instid1(SALU_CYCLE_1)
	v_cmp_le_i32_e64 s4, s27, v3
	s_or_b32 s15, s4, s15
	s_and_not1_b32 exec_lo, exec_lo, s15
	s_cbranch_execz .LBB37_20
.LBB37_15:                              ;   Parent Loop BB37_3 Depth=1
                                        ; =>  This Inner Loop Header: Depth=2
	s_mov_b32 s28, exec_lo
	v_cmpx_gt_i32_e64 s14, v3
	s_cbranch_execz .LBB37_14
; %bb.16:                               ;   in Loop: Header=BB37_15 Depth=2
	global_load_b128 v[22:25], v[14:15], off offset:-8
	global_load_b128 v[26:29], v[4:5], off offset:-8
	s_wait_loadcnt 0x0
	v_mul_f64_e32 v[30:31], v[24:25], v[28:29]
	v_mul_f64_e32 v[28:29], v[22:23], v[28:29]
	s_delay_alu instid0(VALU_DEP_2) | instskip(NEXT) | instid1(VALU_DEP_2)
	v_fma_f64 v[22:23], v[22:23], v[26:27], -v[30:31]
	v_fmac_f64_e32 v[28:29], v[24:25], v[26:27]
	s_delay_alu instid0(VALU_DEP_2) | instskip(NEXT) | instid1(VALU_DEP_2)
	v_add_f64_e32 v[12:13], v[12:13], v[22:23]
	v_add_f64_e32 v[6:7], v[6:7], v[28:29]
	s_branch .LBB37_14
.LBB37_17:                              ;   in Loop: Header=BB37_3 Depth=1
	ds_load_b128 v[4:7], v1
	s_or_b32 exec_lo, exec_lo, s4
	s_and_saveexec_b32 s4, s0
	s_cbranch_execz .LBB37_11
.LBB37_18:                              ;   in Loop: Header=BB37_3 Depth=1
	s_wait_dscnt 0x0
	ds_bpermute_b32 v12, v18, v4
	ds_bpermute_b32 v13, v18, v5
	ds_bpermute_b32 v14, v18, v6
	ds_bpermute_b32 v15, v18, v7
	s_wait_dscnt 0x2
	v_add_f64_e32 v[4:5], v[4:5], v[12:13]
	s_wait_dscnt 0x0
	v_add_f64_e32 v[6:7], v[6:7], v[14:15]
	ds_bpermute_b32 v12, v19, v4
	ds_bpermute_b32 v13, v19, v5
	ds_bpermute_b32 v14, v19, v6
	ds_bpermute_b32 v15, v19, v7
	s_wait_dscnt 0x2
	v_add_f64_e32 v[4:5], v[4:5], v[12:13]
	s_wait_dscnt 0x0
	v_add_f64_e32 v[6:7], v[6:7], v[14:15]
	;; [unrolled: 8-line block ×4, first 2 shown]
	s_or_b32 exec_lo, exec_lo, s4
	s_and_saveexec_b32 s4, vcc_lo
	s_cbranch_execz .LBB37_2
.LBB37_19:                              ;   in Loop: Header=BB37_3 Depth=1
	s_mul_u64 s[28:29], s[22:23], s[24:25]
	s_delay_alu instid0(SALU_CYCLE_1) | instskip(NEXT) | instid1(SALU_CYCLE_1)
	s_lshl_b64 s[28:29], s[28:29], 4
	s_add_nc_u64 s[28:29], s[8:9], s[28:29]
	s_wait_dscnt 0x0
	global_store_b128 v2, v[4:7], s[28:29]
	s_branch .LBB37_2
.LBB37_20:                              ;   in Loop: Header=BB37_3 Depth=1
	s_or_b32 exec_lo, exec_lo, s15
	s_delay_alu instid0(SALU_CYCLE_1)
	s_or_b32 exec_lo, exec_lo, s5
	s_and_saveexec_b32 s4, s0
	s_cbranch_execnz .LBB37_6
	s_branch .LBB37_7
.LBB37_21:
	s_endpgm
	.section	.rodata,"a",@progbits
	.p2align	6, 0x0
	.amdhsa_kernel _ZL20rocblas_trmvt_kernelILi512ELb0ELb0ELb1EPK19rocblas_complex_numIdEPS1_S4_EviT3_lllT4_lllT5_li
		.amdhsa_group_segment_fixed_size 512
		.amdhsa_private_segment_fixed_size 0
		.amdhsa_kernarg_size 92
		.amdhsa_user_sgpr_count 2
		.amdhsa_user_sgpr_dispatch_ptr 0
		.amdhsa_user_sgpr_queue_ptr 0
		.amdhsa_user_sgpr_kernarg_segment_ptr 1
		.amdhsa_user_sgpr_dispatch_id 0
		.amdhsa_user_sgpr_kernarg_preload_length 0
		.amdhsa_user_sgpr_kernarg_preload_offset 0
		.amdhsa_user_sgpr_private_segment_size 0
		.amdhsa_wavefront_size32 1
		.amdhsa_uses_dynamic_stack 0
		.amdhsa_enable_private_segment 0
		.amdhsa_system_sgpr_workgroup_id_x 1
		.amdhsa_system_sgpr_workgroup_id_y 0
		.amdhsa_system_sgpr_workgroup_id_z 1
		.amdhsa_system_sgpr_workgroup_info 0
		.amdhsa_system_vgpr_workitem_id 0
		.amdhsa_next_free_vgpr 32
		.amdhsa_next_free_sgpr 31
		.amdhsa_named_barrier_count 0
		.amdhsa_reserve_vcc 1
		.amdhsa_float_round_mode_32 0
		.amdhsa_float_round_mode_16_64 0
		.amdhsa_float_denorm_mode_32 3
		.amdhsa_float_denorm_mode_16_64 3
		.amdhsa_fp16_overflow 0
		.amdhsa_memory_ordered 1
		.amdhsa_forward_progress 1
		.amdhsa_inst_pref_size 11
		.amdhsa_round_robin_scheduling 0
		.amdhsa_exception_fp_ieee_invalid_op 0
		.amdhsa_exception_fp_denorm_src 0
		.amdhsa_exception_fp_ieee_div_zero 0
		.amdhsa_exception_fp_ieee_overflow 0
		.amdhsa_exception_fp_ieee_underflow 0
		.amdhsa_exception_fp_ieee_inexact 0
		.amdhsa_exception_int_div_zero 0
	.end_amdhsa_kernel
	.section	.text._ZL20rocblas_trmvt_kernelILi512ELb0ELb0ELb1EPK19rocblas_complex_numIdEPS1_S4_EviT3_lllT4_lllT5_li,"axG",@progbits,_ZL20rocblas_trmvt_kernelILi512ELb0ELb0ELb1EPK19rocblas_complex_numIdEPS1_S4_EviT3_lllT4_lllT5_li,comdat
.Lfunc_end37:
	.size	_ZL20rocblas_trmvt_kernelILi512ELb0ELb0ELb1EPK19rocblas_complex_numIdEPS1_S4_EviT3_lllT4_lllT5_li, .Lfunc_end37-_ZL20rocblas_trmvt_kernelILi512ELb0ELb0ELb1EPK19rocblas_complex_numIdEPS1_S4_EviT3_lllT4_lllT5_li
                                        ; -- End function
	.set _ZL20rocblas_trmvt_kernelILi512ELb0ELb0ELb1EPK19rocblas_complex_numIdEPS1_S4_EviT3_lllT4_lllT5_li.num_vgpr, 32
	.set _ZL20rocblas_trmvt_kernelILi512ELb0ELb0ELb1EPK19rocblas_complex_numIdEPS1_S4_EviT3_lllT4_lllT5_li.num_agpr, 0
	.set _ZL20rocblas_trmvt_kernelILi512ELb0ELb0ELb1EPK19rocblas_complex_numIdEPS1_S4_EviT3_lllT4_lllT5_li.numbered_sgpr, 31
	.set _ZL20rocblas_trmvt_kernelILi512ELb0ELb0ELb1EPK19rocblas_complex_numIdEPS1_S4_EviT3_lllT4_lllT5_li.num_named_barrier, 0
	.set _ZL20rocblas_trmvt_kernelILi512ELb0ELb0ELb1EPK19rocblas_complex_numIdEPS1_S4_EviT3_lllT4_lllT5_li.private_seg_size, 0
	.set _ZL20rocblas_trmvt_kernelILi512ELb0ELb0ELb1EPK19rocblas_complex_numIdEPS1_S4_EviT3_lllT4_lllT5_li.uses_vcc, 1
	.set _ZL20rocblas_trmvt_kernelILi512ELb0ELb0ELb1EPK19rocblas_complex_numIdEPS1_S4_EviT3_lllT4_lllT5_li.uses_flat_scratch, 0
	.set _ZL20rocblas_trmvt_kernelILi512ELb0ELb0ELb1EPK19rocblas_complex_numIdEPS1_S4_EviT3_lllT4_lllT5_li.has_dyn_sized_stack, 0
	.set _ZL20rocblas_trmvt_kernelILi512ELb0ELb0ELb1EPK19rocblas_complex_numIdEPS1_S4_EviT3_lllT4_lllT5_li.has_recursion, 0
	.set _ZL20rocblas_trmvt_kernelILi512ELb0ELb0ELb1EPK19rocblas_complex_numIdEPS1_S4_EviT3_lllT4_lllT5_li.has_indirect_call, 0
	.section	.AMDGPU.csdata,"",@progbits
; Kernel info:
; codeLenInByte = 1380
; TotalNumSgprs: 33
; NumVgprs: 32
; ScratchSize: 0
; MemoryBound: 0
; FloatMode: 240
; IeeeMode: 1
; LDSByteSize: 512 bytes/workgroup (compile time only)
; SGPRBlocks: 0
; VGPRBlocks: 1
; NumSGPRsForWavesPerEU: 33
; NumVGPRsForWavesPerEU: 32
; NamedBarCnt: 0
; Occupancy: 16
; WaveLimiterHint : 0
; COMPUTE_PGM_RSRC2:SCRATCH_EN: 0
; COMPUTE_PGM_RSRC2:USER_SGPR: 2
; COMPUTE_PGM_RSRC2:TRAP_HANDLER: 0
; COMPUTE_PGM_RSRC2:TGID_X_EN: 1
; COMPUTE_PGM_RSRC2:TGID_Y_EN: 0
; COMPUTE_PGM_RSRC2:TGID_Z_EN: 1
; COMPUTE_PGM_RSRC2:TIDIG_COMP_CNT: 0
	.section	.text._ZL20rocblas_trmvt_kernelILi512ELb0ELb1ELb1EPK19rocblas_complex_numIdEPS1_S4_EviT3_lllT4_lllT5_li,"axG",@progbits,_ZL20rocblas_trmvt_kernelILi512ELb0ELb1ELb1EPK19rocblas_complex_numIdEPS1_S4_EviT3_lllT4_lllT5_li,comdat
	.globl	_ZL20rocblas_trmvt_kernelILi512ELb0ELb1ELb1EPK19rocblas_complex_numIdEPS1_S4_EviT3_lllT4_lllT5_li ; -- Begin function _ZL20rocblas_trmvt_kernelILi512ELb0ELb1ELb1EPK19rocblas_complex_numIdEPS1_S4_EviT3_lllT4_lllT5_li
	.p2align	8
	.type	_ZL20rocblas_trmvt_kernelILi512ELb0ELb1ELb1EPK19rocblas_complex_numIdEPS1_S4_EviT3_lllT4_lllT5_li,@function
_ZL20rocblas_trmvt_kernelILi512ELb0ELb1ELb1EPK19rocblas_complex_numIdEPS1_S4_EviT3_lllT4_lllT5_li: ; @_ZL20rocblas_trmvt_kernelILi512ELb0ELb1ELb1EPK19rocblas_complex_numIdEPS1_S4_EviT3_lllT4_lllT5_li
; %bb.0:
	s_load_b32 s26, s[0:1], 0x58
	s_bfe_u32 s2, ttmp6, 0x40014
	s_lshr_b32 s4, ttmp7, 16
	s_add_co_i32 s2, s2, 1
	s_bfe_u32 s5, ttmp6, 0x40008
	s_mul_i32 s2, s4, s2
	s_getreg_b32 s3, hwreg(HW_REG_IB_STS2, 6, 4)
	s_add_co_i32 s5, s5, s2
	s_cmp_eq_u32 s3, 0
	s_mov_b32 s25, 0
	s_cselect_b32 s24, s4, s5
	s_wait_kmcnt 0x0
	s_cmp_ge_u32 s24, s26
	s_cbranch_scc1 .LBB38_21
; %bb.1:
	s_clause 0x2
	s_load_b512 s[4:19], s[0:1], 0x8
	s_load_b32 s27, s[0:1], 0x0
	s_load_b128 s[20:23], s[0:1], 0x48
	v_dual_mov_b32 v2, 0 :: v_dual_bitop2_b32 v3, 31, v0 bitop3:0x40
	v_mbcnt_lo_u32_b32 v8, -1, 0
	s_wait_xcnt 0x0
	s_bfe_u32 s1, ttmp6, 0x4000c
	s_delay_alu instid0(VALU_DEP_2)
	v_dual_mov_b32 v1, v2 :: v_dual_lshrrev_b32 v6, 1, v0
	s_add_co_i32 s2, s1, 1
	s_and_b32 s28, ttmp6, 15
	s_mul_i32 s29, ttmp9, s2
	v_cmp_gt_u32_e64 s2, 24, v8
	s_add_co_i32 s30, s28, s29
	v_and_b32_e32 v17, 0xf0, v6
	v_lshl_or_b32 v16, v8, 2, 64
	v_cmp_gt_u32_e64 s0, 32, v0
	v_cndmask_b32_e64 v9, 0, 8, s2
	v_cmp_gt_u32_e64 s2, 28, v8
	v_cmp_gt_u32_e64 s1, 16, v0
	s_wait_kmcnt 0x0
	v_mul_u64_e32 v[4:5], s[16:17], v[0:1]
	s_lshl_b64 s[28:29], s[14:15], 4
	s_cmp_eq_u32 s3, 0
	v_cndmask_b32_e64 v10, 0, 4, s2
	v_cmp_gt_u32_e64 s2, 30, v8
	v_cmp_gt_i32_e64 s3, s27, v0
	s_cselect_b32 s14, ttmp9, s30
	v_dual_lshlrev_b32 v1, 4, v3 :: v_dual_mov_b32 v7, v2
	v_cndmask_b32_e64 v11, 0, 2, s2
	v_cmp_ne_u32_e64 s2, 31, v8
	s_ashr_i32 s15, s14, 31
	s_lshl_b64 s[6:7], s[6:7], 4
	s_mul_u64 s[8:9], s[8:9], s[14:15]
	v_add_lshl_u32 v18, v9, v8, 2
	v_add_co_ci_u32_e64 v12, null, 0, v8, s2
	v_cmp_eq_u32_e64 s2, 0, v3
	v_cndmask_b32_e64 v3, 0, v0, s3
	s_lshl_b64 s[8:9], s[8:9], 4
	v_lshlrev_b32_e32 v21, 2, v12
	s_add_nc_u64 s[6:7], s[8:9], s[6:7]
	v_add_lshl_u32 v19, v10, v8, 2
	v_lshlrev_b32_e32 v6, 4, v3
	s_add_nc_u64 s[4:5], s[4:5], s[6:7]
	s_add_nc_u64 s[6:7], s[12:13], s[28:29]
	v_add_lshl_u32 v20, v11, v8, 2
	s_lshl_b64 s[8:9], s[14:15], 4
	v_add_nc_u64_e32 v[6:7], s[4:5], v[6:7]
	s_mul_u64 s[4:5], s[16:17], s[14:15]
	s_add_nc_u64 s[8:9], s[20:21], s[8:9]
	s_lshl_b64 s[12:13], s[18:19], 4
	v_lshl_add_u64 v[4:5], v[4:5], 4, s[6:7]
	s_lshl_b64 s[16:17], s[16:17], 13
	s_lshl_b64 s[10:11], s[10:11], 4
	v_add_nc_u64_e32 v[10:11], 8, v[6:7]
	s_lshl_b64 s[20:21], s[4:5], 4
	v_add_nc_u64_e32 v[8:9], 8, v[4:5]
	v_cmp_eq_u32_e32 vcc_lo, 0, v0
	s_branch .LBB38_3
.LBB38_2:                               ;   in Loop: Header=BB38_3 Depth=1
	s_wait_xcnt 0x0
	s_or_b32 exec_lo, exec_lo, s4
	s_add_co_i32 s24, s24, 0x10000
	s_delay_alu instid0(SALU_CYCLE_1)
	s_cmp_lt_u32 s24, s26
	s_cbranch_scc0 .LBB38_21
.LBB38_3:                               ; =>This Loop Header: Depth=1
                                        ;     Child Loop BB38_15 Depth 2
	v_mov_b64_e32 v[12:13], 0
	s_wait_dscnt 0x0
	v_mov_b64_e32 v[6:7], 0
	s_and_saveexec_b32 s4, vcc_lo
	s_cbranch_execnz .LBB38_12
; %bb.4:                                ;   in Loop: Header=BB38_3 Depth=1
	s_or_b32 exec_lo, exec_lo, s4
	s_and_saveexec_b32 s5, s3
	s_cbranch_execnz .LBB38_13
.LBB38_5:                               ;   in Loop: Header=BB38_3 Depth=1
	s_or_b32 exec_lo, exec_lo, s5
	s_and_saveexec_b32 s4, s0
.LBB38_6:                               ;   in Loop: Header=BB38_3 Depth=1
	v_dual_mov_b32 v3, v2 :: v_dual_mov_b32 v4, v2
	v_mov_b32_e32 v5, v2
	ds_store_b128 v1, v[2:5]
.LBB38_7:                               ;   in Loop: Header=BB38_3 Depth=1
	s_or_b32 exec_lo, exec_lo, s4
	ds_bpermute_b32 v4, v16, v12
	ds_bpermute_b32 v5, v16, v13
	;; [unrolled: 1-line block ×4, first 2 shown]
	s_wait_dscnt 0x0
	s_barrier_signal -1
	s_barrier_wait -1
	v_add_f64_e32 v[4:5], v[12:13], v[4:5]
	v_add_f64_e32 v[6:7], v[6:7], v[14:15]
	ds_bpermute_b32 v12, v18, v4
	ds_bpermute_b32 v13, v18, v5
	ds_bpermute_b32 v14, v18, v6
	ds_bpermute_b32 v15, v18, v7
	s_wait_dscnt 0x2
	v_add_f64_e32 v[4:5], v[4:5], v[12:13]
	s_wait_dscnt 0x0
	v_add_f64_e32 v[6:7], v[6:7], v[14:15]
	ds_bpermute_b32 v12, v19, v4
	ds_bpermute_b32 v13, v19, v5
	ds_bpermute_b32 v14, v19, v6
	ds_bpermute_b32 v15, v19, v7
	s_wait_dscnt 0x2
	v_add_f64_e32 v[4:5], v[4:5], v[12:13]
	s_wait_dscnt 0x0
	;; [unrolled: 8-line block ×3, first 2 shown]
	v_add_f64_e32 v[12:13], v[6:7], v[14:15]
	ds_bpermute_b32 v6, v21, v4
	ds_bpermute_b32 v7, v21, v5
	;; [unrolled: 1-line block ×4, first 2 shown]
	s_and_saveexec_b32 s4, s2
	s_cbranch_execz .LBB38_9
; %bb.8:                                ;   in Loop: Header=BB38_3 Depth=1
	s_wait_dscnt 0x0
	v_add_f64_e32 v[14:15], v[12:13], v[14:15]
	v_add_f64_e32 v[12:13], v[4:5], v[6:7]
	ds_store_b128 v17, v[12:15]
.LBB38_9:                               ;   in Loop: Header=BB38_3 Depth=1
	s_or_b32 exec_lo, exec_lo, s4
	s_wait_dscnt 0x2
	v_mov_b64_e32 v[6:7], 0
	v_mov_b64_e32 v[4:5], 0
	s_wait_dscnt 0x0
	s_barrier_signal -1
	s_barrier_wait -1
	s_and_saveexec_b32 s4, s1
	s_cbranch_execnz .LBB38_17
; %bb.10:                               ;   in Loop: Header=BB38_3 Depth=1
	s_or_b32 exec_lo, exec_lo, s4
	s_and_saveexec_b32 s4, s0
	s_cbranch_execnz .LBB38_18
.LBB38_11:                              ;   in Loop: Header=BB38_3 Depth=1
	s_or_b32 exec_lo, exec_lo, s4
	s_and_saveexec_b32 s4, vcc_lo
	s_cbranch_execz .LBB38_2
	s_branch .LBB38_19
.LBB38_12:                              ;   in Loop: Header=BB38_3 Depth=1
	s_mul_u64 s[28:29], s[18:19], s[24:25]
	s_delay_alu instid0(SALU_CYCLE_1) | instskip(NEXT) | instid1(SALU_CYCLE_1)
	s_lshl_b64 s[28:29], s[28:29], 4
	s_add_nc_u64 s[28:29], s[6:7], s[28:29]
	s_delay_alu instid0(SALU_CYCLE_1)
	s_add_nc_u64 s[28:29], s[28:29], s[20:21]
	global_load_b128 v[4:7], v2, s[28:29]
	s_wait_loadcnt 0x0
	v_add_f64_e32 v[12:13], 0, v[4:5]
	v_add_f64_e32 v[6:7], 0, v[6:7]
	s_wait_xcnt 0x0
	s_or_b32 exec_lo, exec_lo, s4
	s_and_saveexec_b32 s5, s3
	s_cbranch_execz .LBB38_5
.LBB38_13:                              ;   in Loop: Header=BB38_3 Depth=1
	v_mad_nc_u64_u32 v[4:5], s12, s24, v[8:9]
	v_mad_nc_u64_u32 v[14:15], s10, s24, v[10:11]
	v_mov_b32_e32 v3, v0
	s_mov_b32 s15, 0
	s_delay_alu instid0(VALU_DEP_3) | instskip(NEXT) | instid1(VALU_DEP_3)
	v_mad_u32 v5, s13, s24, v5
	v_mad_u32 v15, s11, s24, v15
	s_branch .LBB38_15
.LBB38_14:                              ;   in Loop: Header=BB38_15 Depth=2
	s_wait_xcnt 0x0
	s_or_b32 exec_lo, exec_lo, s28
	v_add_nc_u32_e32 v3, 0x200, v3
	s_delay_alu instid0(VALU_DEP_4) | instskip(NEXT) | instid1(VALU_DEP_4)
	v_add_nc_u64_e32 v[4:5], s[16:17], v[4:5]
	v_add_nc_u64_e32 v[14:15], 0x2000, v[14:15]
	s_delay_alu instid0(VALU_DEP_3) | instskip(SKIP_1) | instid1(SALU_CYCLE_1)
	v_cmp_le_i32_e64 s4, s27, v3
	s_or_b32 s15, s4, s15
	s_and_not1_b32 exec_lo, exec_lo, s15
	s_cbranch_execz .LBB38_20
.LBB38_15:                              ;   Parent Loop BB38_3 Depth=1
                                        ; =>  This Inner Loop Header: Depth=2
	s_mov_b32 s28, exec_lo
	v_cmpx_gt_i32_e64 s14, v3
	s_cbranch_execz .LBB38_14
; %bb.16:                               ;   in Loop: Header=BB38_15 Depth=2
	global_load_b128 v[22:25], v[14:15], off offset:-8
	global_load_b128 v[26:29], v[4:5], off offset:-8
	s_wait_loadcnt 0x0
	v_mul_f64_e32 v[30:31], v[24:25], v[28:29]
	v_mul_f64_e32 v[24:25], v[24:25], v[26:27]
	s_delay_alu instid0(VALU_DEP_2) | instskip(NEXT) | instid1(VALU_DEP_2)
	v_fmac_f64_e32 v[30:31], v[22:23], v[26:27]
	v_fma_f64 v[22:23], v[22:23], v[28:29], -v[24:25]
	s_delay_alu instid0(VALU_DEP_2) | instskip(NEXT) | instid1(VALU_DEP_2)
	v_add_f64_e32 v[12:13], v[12:13], v[30:31]
	v_add_f64_e32 v[6:7], v[6:7], v[22:23]
	s_branch .LBB38_14
.LBB38_17:                              ;   in Loop: Header=BB38_3 Depth=1
	ds_load_b128 v[4:7], v1
	s_or_b32 exec_lo, exec_lo, s4
	s_and_saveexec_b32 s4, s0
	s_cbranch_execz .LBB38_11
.LBB38_18:                              ;   in Loop: Header=BB38_3 Depth=1
	s_wait_dscnt 0x0
	ds_bpermute_b32 v12, v18, v4
	ds_bpermute_b32 v13, v18, v5
	ds_bpermute_b32 v14, v18, v6
	ds_bpermute_b32 v15, v18, v7
	s_wait_dscnt 0x2
	v_add_f64_e32 v[4:5], v[4:5], v[12:13]
	s_wait_dscnt 0x0
	v_add_f64_e32 v[6:7], v[6:7], v[14:15]
	ds_bpermute_b32 v12, v19, v4
	ds_bpermute_b32 v13, v19, v5
	ds_bpermute_b32 v14, v19, v6
	ds_bpermute_b32 v15, v19, v7
	s_wait_dscnt 0x2
	v_add_f64_e32 v[4:5], v[4:5], v[12:13]
	s_wait_dscnt 0x0
	v_add_f64_e32 v[6:7], v[6:7], v[14:15]
	;; [unrolled: 8-line block ×4, first 2 shown]
	s_or_b32 exec_lo, exec_lo, s4
	s_and_saveexec_b32 s4, vcc_lo
	s_cbranch_execz .LBB38_2
.LBB38_19:                              ;   in Loop: Header=BB38_3 Depth=1
	s_mul_u64 s[28:29], s[22:23], s[24:25]
	s_delay_alu instid0(SALU_CYCLE_1) | instskip(NEXT) | instid1(SALU_CYCLE_1)
	s_lshl_b64 s[28:29], s[28:29], 4
	s_add_nc_u64 s[28:29], s[8:9], s[28:29]
	s_wait_dscnt 0x0
	global_store_b128 v2, v[4:7], s[28:29]
	s_branch .LBB38_2
.LBB38_20:                              ;   in Loop: Header=BB38_3 Depth=1
	s_or_b32 exec_lo, exec_lo, s15
	s_delay_alu instid0(SALU_CYCLE_1)
	s_or_b32 exec_lo, exec_lo, s5
	s_and_saveexec_b32 s4, s0
	s_cbranch_execnz .LBB38_6
	s_branch .LBB38_7
.LBB38_21:
	s_endpgm
	.section	.rodata,"a",@progbits
	.p2align	6, 0x0
	.amdhsa_kernel _ZL20rocblas_trmvt_kernelILi512ELb0ELb1ELb1EPK19rocblas_complex_numIdEPS1_S4_EviT3_lllT4_lllT5_li
		.amdhsa_group_segment_fixed_size 512
		.amdhsa_private_segment_fixed_size 0
		.amdhsa_kernarg_size 92
		.amdhsa_user_sgpr_count 2
		.amdhsa_user_sgpr_dispatch_ptr 0
		.amdhsa_user_sgpr_queue_ptr 0
		.amdhsa_user_sgpr_kernarg_segment_ptr 1
		.amdhsa_user_sgpr_dispatch_id 0
		.amdhsa_user_sgpr_kernarg_preload_length 0
		.amdhsa_user_sgpr_kernarg_preload_offset 0
		.amdhsa_user_sgpr_private_segment_size 0
		.amdhsa_wavefront_size32 1
		.amdhsa_uses_dynamic_stack 0
		.amdhsa_enable_private_segment 0
		.amdhsa_system_sgpr_workgroup_id_x 1
		.amdhsa_system_sgpr_workgroup_id_y 0
		.amdhsa_system_sgpr_workgroup_id_z 1
		.amdhsa_system_sgpr_workgroup_info 0
		.amdhsa_system_vgpr_workitem_id 0
		.amdhsa_next_free_vgpr 32
		.amdhsa_next_free_sgpr 31
		.amdhsa_named_barrier_count 0
		.amdhsa_reserve_vcc 1
		.amdhsa_float_round_mode_32 0
		.amdhsa_float_round_mode_16_64 0
		.amdhsa_float_denorm_mode_32 3
		.amdhsa_float_denorm_mode_16_64 3
		.amdhsa_fp16_overflow 0
		.amdhsa_memory_ordered 1
		.amdhsa_forward_progress 1
		.amdhsa_inst_pref_size 11
		.amdhsa_round_robin_scheduling 0
		.amdhsa_exception_fp_ieee_invalid_op 0
		.amdhsa_exception_fp_denorm_src 0
		.amdhsa_exception_fp_ieee_div_zero 0
		.amdhsa_exception_fp_ieee_overflow 0
		.amdhsa_exception_fp_ieee_underflow 0
		.amdhsa_exception_fp_ieee_inexact 0
		.amdhsa_exception_int_div_zero 0
	.end_amdhsa_kernel
	.section	.text._ZL20rocblas_trmvt_kernelILi512ELb0ELb1ELb1EPK19rocblas_complex_numIdEPS1_S4_EviT3_lllT4_lllT5_li,"axG",@progbits,_ZL20rocblas_trmvt_kernelILi512ELb0ELb1ELb1EPK19rocblas_complex_numIdEPS1_S4_EviT3_lllT4_lllT5_li,comdat
.Lfunc_end38:
	.size	_ZL20rocblas_trmvt_kernelILi512ELb0ELb1ELb1EPK19rocblas_complex_numIdEPS1_S4_EviT3_lllT4_lllT5_li, .Lfunc_end38-_ZL20rocblas_trmvt_kernelILi512ELb0ELb1ELb1EPK19rocblas_complex_numIdEPS1_S4_EviT3_lllT4_lllT5_li
                                        ; -- End function
	.set _ZL20rocblas_trmvt_kernelILi512ELb0ELb1ELb1EPK19rocblas_complex_numIdEPS1_S4_EviT3_lllT4_lllT5_li.num_vgpr, 32
	.set _ZL20rocblas_trmvt_kernelILi512ELb0ELb1ELb1EPK19rocblas_complex_numIdEPS1_S4_EviT3_lllT4_lllT5_li.num_agpr, 0
	.set _ZL20rocblas_trmvt_kernelILi512ELb0ELb1ELb1EPK19rocblas_complex_numIdEPS1_S4_EviT3_lllT4_lllT5_li.numbered_sgpr, 31
	.set _ZL20rocblas_trmvt_kernelILi512ELb0ELb1ELb1EPK19rocblas_complex_numIdEPS1_S4_EviT3_lllT4_lllT5_li.num_named_barrier, 0
	.set _ZL20rocblas_trmvt_kernelILi512ELb0ELb1ELb1EPK19rocblas_complex_numIdEPS1_S4_EviT3_lllT4_lllT5_li.private_seg_size, 0
	.set _ZL20rocblas_trmvt_kernelILi512ELb0ELb1ELb1EPK19rocblas_complex_numIdEPS1_S4_EviT3_lllT4_lllT5_li.uses_vcc, 1
	.set _ZL20rocblas_trmvt_kernelILi512ELb0ELb1ELb1EPK19rocblas_complex_numIdEPS1_S4_EviT3_lllT4_lllT5_li.uses_flat_scratch, 0
	.set _ZL20rocblas_trmvt_kernelILi512ELb0ELb1ELb1EPK19rocblas_complex_numIdEPS1_S4_EviT3_lllT4_lllT5_li.has_dyn_sized_stack, 0
	.set _ZL20rocblas_trmvt_kernelILi512ELb0ELb1ELb1EPK19rocblas_complex_numIdEPS1_S4_EviT3_lllT4_lllT5_li.has_recursion, 0
	.set _ZL20rocblas_trmvt_kernelILi512ELb0ELb1ELb1EPK19rocblas_complex_numIdEPS1_S4_EviT3_lllT4_lllT5_li.has_indirect_call, 0
	.section	.AMDGPU.csdata,"",@progbits
; Kernel info:
; codeLenInByte = 1380
; TotalNumSgprs: 33
; NumVgprs: 32
; ScratchSize: 0
; MemoryBound: 0
; FloatMode: 240
; IeeeMode: 1
; LDSByteSize: 512 bytes/workgroup (compile time only)
; SGPRBlocks: 0
; VGPRBlocks: 1
; NumSGPRsForWavesPerEU: 33
; NumVGPRsForWavesPerEU: 32
; NamedBarCnt: 0
; Occupancy: 16
; WaveLimiterHint : 0
; COMPUTE_PGM_RSRC2:SCRATCH_EN: 0
; COMPUTE_PGM_RSRC2:USER_SGPR: 2
; COMPUTE_PGM_RSRC2:TRAP_HANDLER: 0
; COMPUTE_PGM_RSRC2:TGID_X_EN: 1
; COMPUTE_PGM_RSRC2:TGID_Y_EN: 0
; COMPUTE_PGM_RSRC2:TGID_Z_EN: 1
; COMPUTE_PGM_RSRC2:TIDIG_COMP_CNT: 0
	.section	.text._ZL20rocblas_trmvn_kernelILi64ELi16ELb0ELb0EPK19rocblas_complex_numIdEPS1_S4_EviT3_lllT4_lllT5_li,"axG",@progbits,_ZL20rocblas_trmvn_kernelILi64ELi16ELb0ELb0EPK19rocblas_complex_numIdEPS1_S4_EviT3_lllT4_lllT5_li,comdat
	.globl	_ZL20rocblas_trmvn_kernelILi64ELi16ELb0ELb0EPK19rocblas_complex_numIdEPS1_S4_EviT3_lllT4_lllT5_li ; -- Begin function _ZL20rocblas_trmvn_kernelILi64ELi16ELb0ELb0EPK19rocblas_complex_numIdEPS1_S4_EviT3_lllT4_lllT5_li
	.p2align	8
	.type	_ZL20rocblas_trmvn_kernelILi64ELi16ELb0ELb0EPK19rocblas_complex_numIdEPS1_S4_EviT3_lllT4_lllT5_li,@function
_ZL20rocblas_trmvn_kernelILi64ELi16ELb0ELb0EPK19rocblas_complex_numIdEPS1_S4_EviT3_lllT4_lllT5_li: ; @_ZL20rocblas_trmvn_kernelILi64ELi16ELb0ELb0EPK19rocblas_complex_numIdEPS1_S4_EviT3_lllT4_lllT5_li
; %bb.0:
	s_load_b32 s3, s[0:1], 0x58
	s_bfe_u32 s2, ttmp6, 0x40014
	s_lshr_b32 s4, ttmp7, 16
	s_add_co_i32 s2, s2, 1
	s_bfe_u32 s6, ttmp6, 0x40008
	s_mul_i32 s5, s4, s2
	s_getreg_b32 s2, hwreg(HW_REG_IB_STS2, 6, 4)
	s_add_co_i32 s6, s6, s5
	s_cmp_eq_u32 s2, 0
	s_mov_b32 s25, 0
	s_cselect_b32 s24, s4, s6
	s_wait_kmcnt 0x0
	s_cmp_ge_u32 s24, s3
	s_cbranch_scc1 .LBB39_14
; %bb.1:
	s_clause 0x1
	s_load_b512 s[4:19], s[0:1], 0x8
	s_load_b32 s20, s[0:1], 0x6c
	s_bfe_u32 s21, ttmp6, 0x4000c
	s_and_b32 s22, ttmp6, 15
	s_add_co_i32 s21, s21, 1
	v_and_b32_e32 v14, 0x3ff, v0
	s_mul_i32 s21, ttmp9, s21
	v_bfe_u32 v4, v0, 10, 10
	s_add_co_i32 s22, s22, s21
	s_load_b32 s26, s[0:1], 0x0
	s_delay_alu instid0(VALU_DEP_1)
	v_dual_lshlrev_b32 v18, 4, v14 :: v_dual_lshlrev_b32 v19, 10, v4
	s_wait_kmcnt 0x0
	s_lshl_b64 s[6:7], s[6:7], 4
	s_lshl_b64 s[14:15], s[14:15], 4
	s_and_b32 s27, s20, 0xffff
	s_cmp_eq_u32 s2, 0
	s_add_nc_u64 s[12:13], s[12:13], s[14:15]
	s_cselect_b32 s2, ttmp9, s22
	s_load_b128 s[20:23], s[0:1], 0x48
	v_lshl_add_u32 v6, s2, 6, v14
	v_mov_b32_e32 v5, 0
	v_mad_u32_u24 v15, v4, s27, v14
	s_wait_xcnt 0x0
	v_cmp_eq_u32_e64 s0, 0, v4
	s_lshl_b64 s[14:15], s[16:17], 8
	v_ashrrev_i32_e32 v7, 31, v6
	v_mul_u64_e32 v[2:3], s[8:9], v[4:5]
	v_mul_u64_e32 v[0:1], s[16:17], v[4:5]
	v_cmp_gt_i32_e32 vcc_lo, s26, v6
	v_cmp_gt_u32_e64 s1, 64, v15
	v_mad_nc_u64_u32 v[8:9], v6, s8, v[6:7]
	v_mul_u64_e32 v[10:11], s[16:17], v[6:7]
	v_lshlrev_b64_e32 v[12:13], 4, v[6:7]
	s_lshl_b64 s[16:17], s[10:11], 4
	s_delay_alu instid0(VALU_DEP_3) | instskip(SKIP_3) | instid1(VALU_DEP_3)
	v_mad_u32 v5, v7, s8, v9
	v_mul_u32_u24_e32 v7, s27, v4
	s_and_b32 s27, s0, vcc_lo
	v_cmp_gt_i32_e64 s0, s26, v4
	v_mad_u32 v9, v6, s9, v5
	s_delay_alu instid0(VALU_DEP_3)
	v_lshl_add_u32 v5, v7, 4, v18
	v_add_nc_u32_e32 v7, v18, v19
	s_lshl_b64 s[8:9], s[8:9], 8
	v_lshl_add_u64 v[2:3], v[2:3], 4, s[6:7]
	v_lshl_add_u64 v[0:1], v[0:1], 4, s[12:13]
	s_add_nc_u64 s[6:7], s[4:5], s[6:7]
	s_delay_alu instid0(VALU_DEP_2) | instskip(SKIP_3) | instid1(VALU_DEP_3)
	v_add_nc_u64_e32 v[2:3], v[2:3], v[12:13]
	s_wait_kmcnt 0x0
	v_add_nc_u64_e32 v[12:13], s[20:21], v[12:13]
	v_add_nc_u64_e32 v[14:15], 8, v[0:1]
	;; [unrolled: 1-line block ×3, first 2 shown]
	s_lshl_b64 s[4:5], s[18:19], 4
	s_delay_alu instid0(VALU_DEP_1)
	v_add_nc_u64_e32 v[16:17], 8, v[2:3]
	s_branch .LBB39_3
.LBB39_2:                               ;   in Loop: Header=BB39_3 Depth=1
	s_wait_xcnt 0x0
	s_or_b32 exec_lo, exec_lo, s2
	s_add_co_i32 s24, s24, 0x10000
	s_delay_alu instid0(SALU_CYCLE_1)
	s_cmp_lt_u32 s24, s3
	s_cbranch_scc0 .LBB39_14
.LBB39_3:                               ; =>This Loop Header: Depth=1
                                        ;     Child Loop BB39_8 Depth 2
	v_mov_b64_e32 v[0:1], 0
	v_mov_b64_e32 v[2:3], 0
	s_and_saveexec_b32 s2, s27
	s_cbranch_execz .LBB39_5
; %bb.4:                                ;   in Loop: Header=BB39_3 Depth=1
	s_mul_u64 s[20:21], s[18:19], s[24:25]
	s_mul_u64 s[28:29], s[10:11], s[24:25]
	s_lshl_b64 s[20:21], s[20:21], 4
	s_lshl_b64 s[28:29], s[28:29], 4
	s_add_nc_u64 s[20:21], s[12:13], s[20:21]
	s_add_nc_u64 s[28:29], s[6:7], s[28:29]
	v_lshl_add_u64 v[0:1], v[10:11], 4, s[20:21]
	v_lshl_add_u64 v[2:3], v[8:9], 4, s[28:29]
	global_load_b128 v[18:21], v[0:1], off
	global_load_b128 v[22:25], v[2:3], off
	s_wait_loadcnt 0x0
	s_wait_xcnt 0x1
	v_mul_f64_e32 v[0:1], v[20:21], v[24:25]
	s_wait_xcnt 0x0
	v_mul_f64_e32 v[2:3], v[18:19], v[24:25]
	s_delay_alu instid0(VALU_DEP_2) | instskip(NEXT) | instid1(VALU_DEP_2)
	v_fma_f64 v[0:1], v[18:19], v[22:23], -v[0:1]
	v_fmac_f64_e32 v[2:3], v[20:21], v[22:23]
.LBB39_5:                               ;   in Loop: Header=BB39_3 Depth=1
	s_or_b32 exec_lo, exec_lo, s2
	s_and_saveexec_b32 s20, s0
	s_cbranch_execz .LBB39_11
; %bb.6:                                ;   in Loop: Header=BB39_3 Depth=1
	v_mad_nc_u64_u32 v[18:19], s4, s24, v[14:15]
	v_mad_nc_u64_u32 v[20:21], s16, s24, v[16:17]
	v_mov_b32_e32 v22, v4
	s_mov_b32 s21, 0
	s_delay_alu instid0(VALU_DEP_3) | instskip(NEXT) | instid1(VALU_DEP_3)
	v_mad_u32 v19, s5, s24, v19
	v_mad_u32 v21, s17, s24, v21
	s_branch .LBB39_8
.LBB39_7:                               ;   in Loop: Header=BB39_8 Depth=2
	s_wait_xcnt 0x0
	s_or_b32 exec_lo, exec_lo, s28
	v_add_nc_u32_e32 v22, 16, v22
	s_delay_alu instid0(VALU_DEP_4) | instskip(NEXT) | instid1(VALU_DEP_4)
	v_add_nc_u64_e32 v[18:19], s[14:15], v[18:19]
	v_add_nc_u64_e32 v[20:21], s[8:9], v[20:21]
	s_delay_alu instid0(VALU_DEP_3) | instskip(SKIP_1) | instid1(SALU_CYCLE_1)
	v_cmp_le_i32_e64 s2, s26, v22
	s_or_b32 s21, s2, s21
	s_and_not1_b32 exec_lo, exec_lo, s21
	s_cbranch_execz .LBB39_10
.LBB39_8:                               ;   Parent Loop BB39_3 Depth=1
                                        ; =>  This Inner Loop Header: Depth=2
	s_mov_b32 s28, exec_lo
	v_cmpx_gt_i32_e64 v22, v6
	s_cbranch_execz .LBB39_7
; %bb.9:                                ;   in Loop: Header=BB39_8 Depth=2
	global_load_b128 v[24:27], v[18:19], off offset:-8
	global_load_b128 v[28:31], v[20:21], off offset:-8
	s_wait_loadcnt 0x0
	v_mul_f64_e32 v[32:33], v[26:27], v[30:31]
	v_mul_f64_e32 v[30:31], v[24:25], v[30:31]
	s_delay_alu instid0(VALU_DEP_2) | instskip(NEXT) | instid1(VALU_DEP_2)
	v_fma_f64 v[24:25], v[24:25], v[28:29], -v[32:33]
	v_fmac_f64_e32 v[30:31], v[26:27], v[28:29]
	s_delay_alu instid0(VALU_DEP_2) | instskip(NEXT) | instid1(VALU_DEP_2)
	v_add_f64_e32 v[0:1], v[0:1], v[24:25]
	v_add_f64_e32 v[2:3], v[2:3], v[30:31]
	s_branch .LBB39_7
.LBB39_10:                              ;   in Loop: Header=BB39_3 Depth=1
	s_or_b32 exec_lo, exec_lo, s21
.LBB39_11:                              ;   in Loop: Header=BB39_3 Depth=1
	s_delay_alu instid0(SALU_CYCLE_1)
	s_or_b32 exec_lo, exec_lo, s20
	ds_store_b128 v7, v[0:3]
	s_wait_dscnt 0x0
	s_barrier_signal -1
	s_barrier_wait -1
	s_and_saveexec_b32 s2, s1
	s_cbranch_execz .LBB39_2
; %bb.12:                               ;   in Loop: Header=BB39_3 Depth=1
	ds_load_b128 v[0:3], v5
	ds_load_b128 v[18:21], v5 offset:1024
	s_wait_dscnt 0x0
	v_add_f64_e32 v[22:23], v[0:1], v[18:19]
	v_add_f64_e32 v[24:25], v[2:3], v[20:21]
	ds_load_b128 v[0:3], v5 offset:2048
	ds_load_b128 v[18:21], v5 offset:3072
	s_wait_dscnt 0x1
	v_add_f64_e32 v[0:1], v[22:23], v[0:1]
	v_add_f64_e32 v[2:3], v[24:25], v[2:3]
	s_wait_dscnt 0x0
	s_delay_alu instid0(VALU_DEP_2) | instskip(NEXT) | instid1(VALU_DEP_2)
	v_add_f64_e32 v[22:23], v[0:1], v[18:19]
	v_add_f64_e32 v[24:25], v[2:3], v[20:21]
	ds_load_b128 v[0:3], v5 offset:4096
	ds_load_b128 v[18:21], v5 offset:5120
	s_wait_dscnt 0x1
	v_add_f64_e32 v[0:1], v[22:23], v[0:1]
	v_add_f64_e32 v[2:3], v[24:25], v[2:3]
	s_wait_dscnt 0x0
	s_delay_alu instid0(VALU_DEP_2) | instskip(NEXT) | instid1(VALU_DEP_2)
	;; [unrolled: 9-line block ×7, first 2 shown]
	v_add_f64_e32 v[0:1], v[0:1], v[18:19]
	v_add_f64_e32 v[2:3], v[2:3], v[20:21]
	ds_store_b128 v5, v[0:3]
	s_and_b32 exec_lo, exec_lo, vcc_lo
	s_cbranch_execz .LBB39_2
; %bb.13:                               ;   in Loop: Header=BB39_3 Depth=1
	ds_load_2addr_b64 v[0:3], v5 offset1:1
	s_mul_u64 s[20:21], s[22:23], s[24:25]
	s_delay_alu instid0(SALU_CYCLE_1)
	v_lshl_add_u64 v[18:19], s[20:21], 4, v[12:13]
	s_wait_dscnt 0x0
	global_store_b128 v[18:19], v[0:3], off
	s_branch .LBB39_2
.LBB39_14:
	s_endpgm
	.section	.rodata,"a",@progbits
	.p2align	6, 0x0
	.amdhsa_kernel _ZL20rocblas_trmvn_kernelILi64ELi16ELb0ELb0EPK19rocblas_complex_numIdEPS1_S4_EviT3_lllT4_lllT5_li
		.amdhsa_group_segment_fixed_size 16384
		.amdhsa_private_segment_fixed_size 0
		.amdhsa_kernarg_size 352
		.amdhsa_user_sgpr_count 2
		.amdhsa_user_sgpr_dispatch_ptr 0
		.amdhsa_user_sgpr_queue_ptr 0
		.amdhsa_user_sgpr_kernarg_segment_ptr 1
		.amdhsa_user_sgpr_dispatch_id 0
		.amdhsa_user_sgpr_kernarg_preload_length 0
		.amdhsa_user_sgpr_kernarg_preload_offset 0
		.amdhsa_user_sgpr_private_segment_size 0
		.amdhsa_wavefront_size32 1
		.amdhsa_uses_dynamic_stack 0
		.amdhsa_enable_private_segment 0
		.amdhsa_system_sgpr_workgroup_id_x 1
		.amdhsa_system_sgpr_workgroup_id_y 0
		.amdhsa_system_sgpr_workgroup_id_z 1
		.amdhsa_system_sgpr_workgroup_info 0
		.amdhsa_system_vgpr_workitem_id 1
		.amdhsa_next_free_vgpr 34
		.amdhsa_next_free_sgpr 30
		.amdhsa_named_barrier_count 0
		.amdhsa_reserve_vcc 1
		.amdhsa_float_round_mode_32 0
		.amdhsa_float_round_mode_16_64 0
		.amdhsa_float_denorm_mode_32 3
		.amdhsa_float_denorm_mode_16_64 3
		.amdhsa_fp16_overflow 0
		.amdhsa_memory_ordered 1
		.amdhsa_forward_progress 1
		.amdhsa_inst_pref_size 10
		.amdhsa_round_robin_scheduling 0
		.amdhsa_exception_fp_ieee_invalid_op 0
		.amdhsa_exception_fp_denorm_src 0
		.amdhsa_exception_fp_ieee_div_zero 0
		.amdhsa_exception_fp_ieee_overflow 0
		.amdhsa_exception_fp_ieee_underflow 0
		.amdhsa_exception_fp_ieee_inexact 0
		.amdhsa_exception_int_div_zero 0
	.end_amdhsa_kernel
	.section	.text._ZL20rocblas_trmvn_kernelILi64ELi16ELb0ELb0EPK19rocblas_complex_numIdEPS1_S4_EviT3_lllT4_lllT5_li,"axG",@progbits,_ZL20rocblas_trmvn_kernelILi64ELi16ELb0ELb0EPK19rocblas_complex_numIdEPS1_S4_EviT3_lllT4_lllT5_li,comdat
.Lfunc_end39:
	.size	_ZL20rocblas_trmvn_kernelILi64ELi16ELb0ELb0EPK19rocblas_complex_numIdEPS1_S4_EviT3_lllT4_lllT5_li, .Lfunc_end39-_ZL20rocblas_trmvn_kernelILi64ELi16ELb0ELb0EPK19rocblas_complex_numIdEPS1_S4_EviT3_lllT4_lllT5_li
                                        ; -- End function
	.set _ZL20rocblas_trmvn_kernelILi64ELi16ELb0ELb0EPK19rocblas_complex_numIdEPS1_S4_EviT3_lllT4_lllT5_li.num_vgpr, 34
	.set _ZL20rocblas_trmvn_kernelILi64ELi16ELb0ELb0EPK19rocblas_complex_numIdEPS1_S4_EviT3_lllT4_lllT5_li.num_agpr, 0
	.set _ZL20rocblas_trmvn_kernelILi64ELi16ELb0ELb0EPK19rocblas_complex_numIdEPS1_S4_EviT3_lllT4_lllT5_li.numbered_sgpr, 30
	.set _ZL20rocblas_trmvn_kernelILi64ELi16ELb0ELb0EPK19rocblas_complex_numIdEPS1_S4_EviT3_lllT4_lllT5_li.num_named_barrier, 0
	.set _ZL20rocblas_trmvn_kernelILi64ELi16ELb0ELb0EPK19rocblas_complex_numIdEPS1_S4_EviT3_lllT4_lllT5_li.private_seg_size, 0
	.set _ZL20rocblas_trmvn_kernelILi64ELi16ELb0ELb0EPK19rocblas_complex_numIdEPS1_S4_EviT3_lllT4_lllT5_li.uses_vcc, 1
	.set _ZL20rocblas_trmvn_kernelILi64ELi16ELb0ELb0EPK19rocblas_complex_numIdEPS1_S4_EviT3_lllT4_lllT5_li.uses_flat_scratch, 0
	.set _ZL20rocblas_trmvn_kernelILi64ELi16ELb0ELb0EPK19rocblas_complex_numIdEPS1_S4_EviT3_lllT4_lllT5_li.has_dyn_sized_stack, 0
	.set _ZL20rocblas_trmvn_kernelILi64ELi16ELb0ELb0EPK19rocblas_complex_numIdEPS1_S4_EviT3_lllT4_lllT5_li.has_recursion, 0
	.set _ZL20rocblas_trmvn_kernelILi64ELi16ELb0ELb0EPK19rocblas_complex_numIdEPS1_S4_EviT3_lllT4_lllT5_li.has_indirect_call, 0
	.section	.AMDGPU.csdata,"",@progbits
; Kernel info:
; codeLenInByte = 1164
; TotalNumSgprs: 32
; NumVgprs: 34
; ScratchSize: 0
; MemoryBound: 0
; FloatMode: 240
; IeeeMode: 1
; LDSByteSize: 16384 bytes/workgroup (compile time only)
; SGPRBlocks: 0
; VGPRBlocks: 2
; NumSGPRsForWavesPerEU: 32
; NumVGPRsForWavesPerEU: 34
; NamedBarCnt: 0
; Occupancy: 16
; WaveLimiterHint : 0
; COMPUTE_PGM_RSRC2:SCRATCH_EN: 0
; COMPUTE_PGM_RSRC2:USER_SGPR: 2
; COMPUTE_PGM_RSRC2:TRAP_HANDLER: 0
; COMPUTE_PGM_RSRC2:TGID_X_EN: 1
; COMPUTE_PGM_RSRC2:TGID_Y_EN: 0
; COMPUTE_PGM_RSRC2:TGID_Z_EN: 1
; COMPUTE_PGM_RSRC2:TIDIG_COMP_CNT: 1
	.section	.text._ZL20rocblas_trmvt_kernelILi512ELb0ELb0ELb0EPK19rocblas_complex_numIdEPS1_S4_EviT3_lllT4_lllT5_li,"axG",@progbits,_ZL20rocblas_trmvt_kernelILi512ELb0ELb0ELb0EPK19rocblas_complex_numIdEPS1_S4_EviT3_lllT4_lllT5_li,comdat
	.globl	_ZL20rocblas_trmvt_kernelILi512ELb0ELb0ELb0EPK19rocblas_complex_numIdEPS1_S4_EviT3_lllT4_lllT5_li ; -- Begin function _ZL20rocblas_trmvt_kernelILi512ELb0ELb0ELb0EPK19rocblas_complex_numIdEPS1_S4_EviT3_lllT4_lllT5_li
	.p2align	8
	.type	_ZL20rocblas_trmvt_kernelILi512ELb0ELb0ELb0EPK19rocblas_complex_numIdEPS1_S4_EviT3_lllT4_lllT5_li,@function
_ZL20rocblas_trmvt_kernelILi512ELb0ELb0ELb0EPK19rocblas_complex_numIdEPS1_S4_EviT3_lllT4_lllT5_li: ; @_ZL20rocblas_trmvt_kernelILi512ELb0ELb0ELb0EPK19rocblas_complex_numIdEPS1_S4_EviT3_lllT4_lllT5_li
; %bb.0:
	s_load_b32 s28, s[0:1], 0x58
	s_bfe_u32 s2, ttmp6, 0x40014
	s_lshr_b32 s3, ttmp7, 16
	s_add_co_i32 s2, s2, 1
	s_bfe_u32 s4, ttmp6, 0x40008
	s_mul_i32 s2, s3, s2
	s_getreg_b32 s26, hwreg(HW_REG_IB_STS2, 6, 4)
	s_add_co_i32 s4, s4, s2
	s_cmp_eq_u32 s26, 0
	s_mov_b32 s25, 0
	s_cselect_b32 s24, s3, s4
	s_wait_kmcnt 0x0
	s_cmp_ge_u32 s24, s28
	s_cbranch_scc1 .LBB40_21
; %bb.1:
	s_clause 0x2
	s_load_b512 s[4:19], s[0:1], 0x8
	s_load_b32 s29, s[0:1], 0x0
	s_load_b128 s[20:23], s[0:1], 0x48
	v_dual_mov_b32 v2, 0 :: v_dual_bitop2_b32 v3, 31, v0 bitop3:0x40
	v_mbcnt_lo_u32_b32 v8, -1, 0
	v_lshrrev_b32_e32 v4, 1, v0
	s_bfe_u32 s2, ttmp6, 0x4000c
	s_delay_alu instid0(VALU_DEP_3)
	v_mov_b32_e32 v1, v2
	s_add_co_i32 s2, s2, 1
	s_and_b32 s3, ttmp6, 15
	s_mul_i32 s27, ttmp9, s2
	v_cmp_gt_u32_e64 s2, 24, v8
	s_add_co_i32 s27, s3, s27
	v_dual_mov_b32 v5, v2 :: v_dual_lshlrev_b32 v18, 4, v3
	v_lshl_or_b32 v19, v8, 2, 64
	v_cndmask_b32_e64 v9, 0, 8, s2
	v_cmp_gt_u32_e64 s2, 28, v8
	s_wait_xcnt 0x0
	v_cmp_gt_u32_e64 s0, 32, v0
	s_wait_kmcnt 0x0
	v_mul_u64_e32 v[6:7], s[16:17], v[0:1]
	s_lshl_b64 s[14:15], s[14:15], 4
	s_lshl_b64 s[30:31], s[6:7], 4
	v_cndmask_b32_e64 v10, 0, 4, s2
	v_cmp_gt_u32_e64 s2, 30, v8
	v_cmp_gt_i32_e64 s3, s29, v0
	s_cmp_eq_u32 s26, 0
	v_and_b32_e32 v1, 0xf0, v4
	s_cselect_b32 s6, ttmp9, s27
	v_cndmask_b32_e64 v11, 0, 2, s2
	v_cmp_ne_u32_e64 s2, 31, v8
	s_ashr_i32 s7, s6, 31
	v_add_lshl_u32 v20, v9, v8, 2
	s_mul_u64 s[8:9], s[8:9], s[6:7]
	v_add_lshl_u32 v21, v10, v8, 2
	v_add_co_ci_u32_e64 v12, null, 0, v8, s2
	v_cmp_eq_u32_e64 s2, 0, v3
	v_cndmask_b32_e64 v3, 0, v0, s3
	s_lshl_b64 s[26:27], s[8:9], 4
	s_add_nc_u64 s[8:9], s[4:5], s[30:31]
	s_add_nc_u64 s[30:31], s[26:27], s[30:31]
	v_add_lshl_u32 v22, v11, v8, 2
	v_dual_lshlrev_b32 v4, 4, v3 :: v_dual_lshlrev_b32 v23, 2, v12
	s_add_nc_u64 s[4:5], s[4:5], s[30:31]
	v_cmp_gt_u32_e64 s1, 16, v0
	v_cmp_eq_u32_e32 vcc_lo, 0, v0
	s_delay_alu instid0(VALU_DEP_3)
	v_add_nc_u64_e32 v[8:9], s[8:9], v[4:5]
	s_add_nc_u64 s[8:9], s[12:13], s[14:15]
	v_add_nc_u64_e32 v[4:5], s[4:5], v[4:5]
	s_mul_u64 s[4:5], s[16:17], s[6:7]
	v_lshl_add_u64 v[6:7], v[6:7], 4, s[8:9]
	s_lshl_b64 s[12:13], s[6:7], 4
	s_lshl_b64 s[14:15], s[18:19], 4
	v_add_nc_u64_e32 v[8:9], s[26:27], v[8:9]
	s_add_nc_u64 s[12:13], s[20:21], s[12:13]
	v_add_nc_u64_e32 v[10:11], 8, v[6:7]
	v_add_nc_u64_e32 v[12:13], 8, v[4:5]
	s_lshl_b64 s[16:17], s[16:17], 13
	s_lshl_b64 s[20:21], s[10:11], 4
	;; [unrolled: 1-line block ×3, first 2 shown]
	s_branch .LBB40_3
.LBB40_2:                               ;   in Loop: Header=BB40_3 Depth=1
	s_wait_xcnt 0x0
	s_or_b32 exec_lo, exec_lo, s4
	s_add_co_i32 s24, s24, 0x10000
	s_delay_alu instid0(SALU_CYCLE_1)
	s_cmp_lt_u32 s24, s28
	s_cbranch_scc0 .LBB40_21
.LBB40_3:                               ; =>This Loop Header: Depth=1
                                        ;     Child Loop BB40_15 Depth 2
	v_mov_b64_e32 v[14:15], 0
	s_wait_dscnt 0x0
	v_mov_b64_e32 v[6:7], 0
	s_and_saveexec_b32 s4, vcc_lo
	s_cbranch_execnz .LBB40_12
; %bb.4:                                ;   in Loop: Header=BB40_3 Depth=1
	s_or_b32 exec_lo, exec_lo, s4
	s_and_saveexec_b32 s5, s3
	s_cbranch_execnz .LBB40_13
.LBB40_5:                               ;   in Loop: Header=BB40_3 Depth=1
	s_or_b32 exec_lo, exec_lo, s5
	s_and_saveexec_b32 s4, s0
.LBB40_6:                               ;   in Loop: Header=BB40_3 Depth=1
	v_dual_mov_b32 v3, v2 :: v_dual_mov_b32 v4, v2
	v_mov_b32_e32 v5, v2
	ds_store_b128 v18, v[2:5]
.LBB40_7:                               ;   in Loop: Header=BB40_3 Depth=1
	s_or_b32 exec_lo, exec_lo, s4
	ds_bpermute_b32 v4, v19, v14
	ds_bpermute_b32 v5, v19, v15
	;; [unrolled: 1-line block ×4, first 2 shown]
	s_wait_dscnt 0x0
	s_barrier_signal -1
	s_barrier_wait -1
	v_add_f64_e32 v[4:5], v[14:15], v[4:5]
	v_add_f64_e32 v[6:7], v[6:7], v[16:17]
	ds_bpermute_b32 v14, v20, v4
	ds_bpermute_b32 v15, v20, v5
	ds_bpermute_b32 v16, v20, v6
	ds_bpermute_b32 v17, v20, v7
	s_wait_dscnt 0x2
	v_add_f64_e32 v[4:5], v[4:5], v[14:15]
	s_wait_dscnt 0x0
	v_add_f64_e32 v[6:7], v[6:7], v[16:17]
	ds_bpermute_b32 v14, v21, v4
	ds_bpermute_b32 v15, v21, v5
	ds_bpermute_b32 v16, v21, v6
	ds_bpermute_b32 v17, v21, v7
	s_wait_dscnt 0x2
	v_add_f64_e32 v[4:5], v[4:5], v[14:15]
	s_wait_dscnt 0x0
	v_add_f64_e32 v[6:7], v[6:7], v[16:17]
	ds_bpermute_b32 v14, v22, v4
	ds_bpermute_b32 v15, v22, v5
	ds_bpermute_b32 v16, v22, v6
	ds_bpermute_b32 v17, v22, v7
	s_wait_dscnt 0x2
	v_add_f64_e32 v[4:5], v[4:5], v[14:15]
	s_wait_dscnt 0x0
	v_add_f64_e32 v[14:15], v[6:7], v[16:17]
	ds_bpermute_b32 v6, v23, v4
	ds_bpermute_b32 v7, v23, v5
	;; [unrolled: 1-line block ×4, first 2 shown]
	s_and_saveexec_b32 s4, s2
	s_cbranch_execz .LBB40_9
; %bb.8:                                ;   in Loop: Header=BB40_3 Depth=1
	s_wait_dscnt 0x0
	v_add_f64_e32 v[16:17], v[14:15], v[16:17]
	v_add_f64_e32 v[14:15], v[4:5], v[6:7]
	ds_store_b128 v1, v[14:17]
.LBB40_9:                               ;   in Loop: Header=BB40_3 Depth=1
	s_or_b32 exec_lo, exec_lo, s4
	s_wait_dscnt 0x2
	v_mov_b64_e32 v[6:7], 0
	v_mov_b64_e32 v[4:5], 0
	s_wait_dscnt 0x0
	s_barrier_signal -1
	s_barrier_wait -1
	s_and_saveexec_b32 s4, s1
	s_cbranch_execnz .LBB40_17
; %bb.10:                               ;   in Loop: Header=BB40_3 Depth=1
	s_or_b32 exec_lo, exec_lo, s4
	s_and_saveexec_b32 s4, s0
	s_cbranch_execnz .LBB40_18
.LBB40_11:                              ;   in Loop: Header=BB40_3 Depth=1
	s_or_b32 exec_lo, exec_lo, s4
	s_and_saveexec_b32 s4, vcc_lo
	s_cbranch_execz .LBB40_2
	s_branch .LBB40_19
.LBB40_12:                              ;   in Loop: Header=BB40_3 Depth=1
	s_mul_u64 s[30:31], s[10:11], s[24:25]
	s_mul_u64 s[34:35], s[18:19], s[24:25]
	v_lshl_add_u64 v[4:5], s[30:31], 4, v[8:9]
	s_lshl_b64 s[30:31], s[34:35], 4
	s_delay_alu instid0(SALU_CYCLE_1) | instskip(NEXT) | instid1(SALU_CYCLE_1)
	s_add_nc_u64 s[30:31], s[8:9], s[30:31]
	s_add_nc_u64 s[30:31], s[30:31], s[26:27]
	s_delay_alu instid0(VALU_DEP_1)
	v_lshl_add_u64 v[24:25], s[6:7], 4, v[4:5]
	global_load_b128 v[4:7], v2, s[30:31]
	global_load_b128 v[14:17], v[24:25], off
	s_wait_loadcnt 0x0
	s_wait_xcnt 0x0
	v_mul_f64_e32 v[24:25], v[16:17], v[6:7]
	v_mul_f64_e32 v[6:7], v[14:15], v[6:7]
	s_delay_alu instid0(VALU_DEP_2) | instskip(NEXT) | instid1(VALU_DEP_2)
	v_fma_f64 v[14:15], v[14:15], v[4:5], -v[24:25]
	v_fmac_f64_e32 v[6:7], v[16:17], v[4:5]
	s_delay_alu instid0(VALU_DEP_2) | instskip(NEXT) | instid1(VALU_DEP_2)
	v_add_f64_e32 v[14:15], 0, v[14:15]
	v_add_f64_e32 v[6:7], 0, v[6:7]
	s_or_b32 exec_lo, exec_lo, s4
	s_and_saveexec_b32 s5, s3
	s_cbranch_execz .LBB40_5
.LBB40_13:                              ;   in Loop: Header=BB40_3 Depth=1
	v_mad_nc_u64_u32 v[4:5], s14, s24, v[10:11]
	v_mad_nc_u64_u32 v[16:17], s20, s24, v[12:13]
	v_mov_b32_e32 v3, v0
	s_mov_b32 s30, 0
	s_delay_alu instid0(VALU_DEP_3) | instskip(NEXT) | instid1(VALU_DEP_3)
	v_mad_u32 v5, s15, s24, v5
	v_mad_u32 v17, s21, s24, v17
	s_branch .LBB40_15
.LBB40_14:                              ;   in Loop: Header=BB40_15 Depth=2
	s_wait_xcnt 0x0
	s_or_b32 exec_lo, exec_lo, s31
	v_add_nc_u32_e32 v3, 0x200, v3
	s_delay_alu instid0(VALU_DEP_4) | instskip(NEXT) | instid1(VALU_DEP_4)
	v_add_nc_u64_e32 v[4:5], s[16:17], v[4:5]
	v_add_nc_u64_e32 v[16:17], 0x2000, v[16:17]
	s_delay_alu instid0(VALU_DEP_3) | instskip(SKIP_1) | instid1(SALU_CYCLE_1)
	v_cmp_le_i32_e64 s4, s29, v3
	s_or_b32 s30, s4, s30
	s_and_not1_b32 exec_lo, exec_lo, s30
	s_cbranch_execz .LBB40_20
.LBB40_15:                              ;   Parent Loop BB40_3 Depth=1
                                        ; =>  This Inner Loop Header: Depth=2
	s_mov_b32 s31, exec_lo
	v_cmpx_gt_i32_e64 s6, v3
	s_cbranch_execz .LBB40_14
; %bb.16:                               ;   in Loop: Header=BB40_15 Depth=2
	global_load_b128 v[24:27], v[16:17], off offset:-8
	global_load_b128 v[28:31], v[4:5], off offset:-8
	s_wait_loadcnt 0x0
	v_mul_f64_e32 v[32:33], v[26:27], v[30:31]
	v_mul_f64_e32 v[30:31], v[24:25], v[30:31]
	s_delay_alu instid0(VALU_DEP_2) | instskip(NEXT) | instid1(VALU_DEP_2)
	v_fma_f64 v[24:25], v[24:25], v[28:29], -v[32:33]
	v_fmac_f64_e32 v[30:31], v[26:27], v[28:29]
	s_delay_alu instid0(VALU_DEP_2) | instskip(NEXT) | instid1(VALU_DEP_2)
	v_add_f64_e32 v[14:15], v[14:15], v[24:25]
	v_add_f64_e32 v[6:7], v[6:7], v[30:31]
	s_branch .LBB40_14
.LBB40_17:                              ;   in Loop: Header=BB40_3 Depth=1
	ds_load_b128 v[4:7], v18
	s_or_b32 exec_lo, exec_lo, s4
	s_and_saveexec_b32 s4, s0
	s_cbranch_execz .LBB40_11
.LBB40_18:                              ;   in Loop: Header=BB40_3 Depth=1
	s_wait_dscnt 0x0
	ds_bpermute_b32 v14, v20, v4
	ds_bpermute_b32 v15, v20, v5
	ds_bpermute_b32 v16, v20, v6
	ds_bpermute_b32 v17, v20, v7
	s_wait_dscnt 0x2
	v_add_f64_e32 v[4:5], v[4:5], v[14:15]
	s_wait_dscnt 0x0
	v_add_f64_e32 v[6:7], v[6:7], v[16:17]
	ds_bpermute_b32 v14, v21, v4
	ds_bpermute_b32 v15, v21, v5
	ds_bpermute_b32 v16, v21, v6
	ds_bpermute_b32 v17, v21, v7
	s_wait_dscnt 0x2
	v_add_f64_e32 v[4:5], v[4:5], v[14:15]
	s_wait_dscnt 0x0
	v_add_f64_e32 v[6:7], v[6:7], v[16:17]
	;; [unrolled: 8-line block ×4, first 2 shown]
	s_or_b32 exec_lo, exec_lo, s4
	s_and_saveexec_b32 s4, vcc_lo
	s_cbranch_execz .LBB40_2
.LBB40_19:                              ;   in Loop: Header=BB40_3 Depth=1
	s_mul_u64 s[30:31], s[22:23], s[24:25]
	s_delay_alu instid0(SALU_CYCLE_1) | instskip(NEXT) | instid1(SALU_CYCLE_1)
	s_lshl_b64 s[30:31], s[30:31], 4
	s_add_nc_u64 s[30:31], s[12:13], s[30:31]
	s_wait_dscnt 0x0
	global_store_b128 v2, v[4:7], s[30:31]
	s_branch .LBB40_2
.LBB40_20:                              ;   in Loop: Header=BB40_3 Depth=1
	s_or_b32 exec_lo, exec_lo, s30
	s_delay_alu instid0(SALU_CYCLE_1)
	s_or_b32 exec_lo, exec_lo, s5
	s_and_saveexec_b32 s4, s0
	s_cbranch_execnz .LBB40_6
	s_branch .LBB40_7
.LBB40_21:
	s_endpgm
	.section	.rodata,"a",@progbits
	.p2align	6, 0x0
	.amdhsa_kernel _ZL20rocblas_trmvt_kernelILi512ELb0ELb0ELb0EPK19rocblas_complex_numIdEPS1_S4_EviT3_lllT4_lllT5_li
		.amdhsa_group_segment_fixed_size 512
		.amdhsa_private_segment_fixed_size 0
		.amdhsa_kernarg_size 92
		.amdhsa_user_sgpr_count 2
		.amdhsa_user_sgpr_dispatch_ptr 0
		.amdhsa_user_sgpr_queue_ptr 0
		.amdhsa_user_sgpr_kernarg_segment_ptr 1
		.amdhsa_user_sgpr_dispatch_id 0
		.amdhsa_user_sgpr_kernarg_preload_length 0
		.amdhsa_user_sgpr_kernarg_preload_offset 0
		.amdhsa_user_sgpr_private_segment_size 0
		.amdhsa_wavefront_size32 1
		.amdhsa_uses_dynamic_stack 0
		.amdhsa_enable_private_segment 0
		.amdhsa_system_sgpr_workgroup_id_x 1
		.amdhsa_system_sgpr_workgroup_id_y 0
		.amdhsa_system_sgpr_workgroup_id_z 1
		.amdhsa_system_sgpr_workgroup_info 0
		.amdhsa_system_vgpr_workitem_id 0
		.amdhsa_next_free_vgpr 34
		.amdhsa_next_free_sgpr 36
		.amdhsa_named_barrier_count 0
		.amdhsa_reserve_vcc 1
		.amdhsa_float_round_mode_32 0
		.amdhsa_float_round_mode_16_64 0
		.amdhsa_float_denorm_mode_32 3
		.amdhsa_float_denorm_mode_16_64 3
		.amdhsa_fp16_overflow 0
		.amdhsa_memory_ordered 1
		.amdhsa_forward_progress 1
		.amdhsa_inst_pref_size 12
		.amdhsa_round_robin_scheduling 0
		.amdhsa_exception_fp_ieee_invalid_op 0
		.amdhsa_exception_fp_denorm_src 0
		.amdhsa_exception_fp_ieee_div_zero 0
		.amdhsa_exception_fp_ieee_overflow 0
		.amdhsa_exception_fp_ieee_underflow 0
		.amdhsa_exception_fp_ieee_inexact 0
		.amdhsa_exception_int_div_zero 0
	.end_amdhsa_kernel
	.section	.text._ZL20rocblas_trmvt_kernelILi512ELb0ELb0ELb0EPK19rocblas_complex_numIdEPS1_S4_EviT3_lllT4_lllT5_li,"axG",@progbits,_ZL20rocblas_trmvt_kernelILi512ELb0ELb0ELb0EPK19rocblas_complex_numIdEPS1_S4_EviT3_lllT4_lllT5_li,comdat
.Lfunc_end40:
	.size	_ZL20rocblas_trmvt_kernelILi512ELb0ELb0ELb0EPK19rocblas_complex_numIdEPS1_S4_EviT3_lllT4_lllT5_li, .Lfunc_end40-_ZL20rocblas_trmvt_kernelILi512ELb0ELb0ELb0EPK19rocblas_complex_numIdEPS1_S4_EviT3_lllT4_lllT5_li
                                        ; -- End function
	.set _ZL20rocblas_trmvt_kernelILi512ELb0ELb0ELb0EPK19rocblas_complex_numIdEPS1_S4_EviT3_lllT4_lllT5_li.num_vgpr, 34
	.set _ZL20rocblas_trmvt_kernelILi512ELb0ELb0ELb0EPK19rocblas_complex_numIdEPS1_S4_EviT3_lllT4_lllT5_li.num_agpr, 0
	.set _ZL20rocblas_trmvt_kernelILi512ELb0ELb0ELb0EPK19rocblas_complex_numIdEPS1_S4_EviT3_lllT4_lllT5_li.numbered_sgpr, 36
	.set _ZL20rocblas_trmvt_kernelILi512ELb0ELb0ELb0EPK19rocblas_complex_numIdEPS1_S4_EviT3_lllT4_lllT5_li.num_named_barrier, 0
	.set _ZL20rocblas_trmvt_kernelILi512ELb0ELb0ELb0EPK19rocblas_complex_numIdEPS1_S4_EviT3_lllT4_lllT5_li.private_seg_size, 0
	.set _ZL20rocblas_trmvt_kernelILi512ELb0ELb0ELb0EPK19rocblas_complex_numIdEPS1_S4_EviT3_lllT4_lllT5_li.uses_vcc, 1
	.set _ZL20rocblas_trmvt_kernelILi512ELb0ELb0ELb0EPK19rocblas_complex_numIdEPS1_S4_EviT3_lllT4_lllT5_li.uses_flat_scratch, 0
	.set _ZL20rocblas_trmvt_kernelILi512ELb0ELb0ELb0EPK19rocblas_complex_numIdEPS1_S4_EviT3_lllT4_lllT5_li.has_dyn_sized_stack, 0
	.set _ZL20rocblas_trmvt_kernelILi512ELb0ELb0ELb0EPK19rocblas_complex_numIdEPS1_S4_EviT3_lllT4_lllT5_li.has_recursion, 0
	.set _ZL20rocblas_trmvt_kernelILi512ELb0ELb0ELb0EPK19rocblas_complex_numIdEPS1_S4_EviT3_lllT4_lllT5_li.has_indirect_call, 0
	.section	.AMDGPU.csdata,"",@progbits
; Kernel info:
; codeLenInByte = 1456
; TotalNumSgprs: 38
; NumVgprs: 34
; ScratchSize: 0
; MemoryBound: 0
; FloatMode: 240
; IeeeMode: 1
; LDSByteSize: 512 bytes/workgroup (compile time only)
; SGPRBlocks: 0
; VGPRBlocks: 2
; NumSGPRsForWavesPerEU: 38
; NumVGPRsForWavesPerEU: 34
; NamedBarCnt: 0
; Occupancy: 16
; WaveLimiterHint : 0
; COMPUTE_PGM_RSRC2:SCRATCH_EN: 0
; COMPUTE_PGM_RSRC2:USER_SGPR: 2
; COMPUTE_PGM_RSRC2:TRAP_HANDLER: 0
; COMPUTE_PGM_RSRC2:TGID_X_EN: 1
; COMPUTE_PGM_RSRC2:TGID_Y_EN: 0
; COMPUTE_PGM_RSRC2:TGID_Z_EN: 1
; COMPUTE_PGM_RSRC2:TIDIG_COMP_CNT: 0
	.section	.text._ZL20rocblas_trmvt_kernelILi512ELb0ELb1ELb0EPK19rocblas_complex_numIdEPS1_S4_EviT3_lllT4_lllT5_li,"axG",@progbits,_ZL20rocblas_trmvt_kernelILi512ELb0ELb1ELb0EPK19rocblas_complex_numIdEPS1_S4_EviT3_lllT4_lllT5_li,comdat
	.globl	_ZL20rocblas_trmvt_kernelILi512ELb0ELb1ELb0EPK19rocblas_complex_numIdEPS1_S4_EviT3_lllT4_lllT5_li ; -- Begin function _ZL20rocblas_trmvt_kernelILi512ELb0ELb1ELb0EPK19rocblas_complex_numIdEPS1_S4_EviT3_lllT4_lllT5_li
	.p2align	8
	.type	_ZL20rocblas_trmvt_kernelILi512ELb0ELb1ELb0EPK19rocblas_complex_numIdEPS1_S4_EviT3_lllT4_lllT5_li,@function
_ZL20rocblas_trmvt_kernelILi512ELb0ELb1ELb0EPK19rocblas_complex_numIdEPS1_S4_EviT3_lllT4_lllT5_li: ; @_ZL20rocblas_trmvt_kernelILi512ELb0ELb1ELb0EPK19rocblas_complex_numIdEPS1_S4_EviT3_lllT4_lllT5_li
; %bb.0:
	s_load_b32 s28, s[0:1], 0x58
	s_bfe_u32 s2, ttmp6, 0x40014
	s_lshr_b32 s3, ttmp7, 16
	s_add_co_i32 s2, s2, 1
	s_bfe_u32 s4, ttmp6, 0x40008
	s_mul_i32 s2, s3, s2
	s_getreg_b32 s26, hwreg(HW_REG_IB_STS2, 6, 4)
	s_add_co_i32 s4, s4, s2
	s_cmp_eq_u32 s26, 0
	s_mov_b32 s25, 0
	s_cselect_b32 s24, s3, s4
	s_wait_kmcnt 0x0
	s_cmp_ge_u32 s24, s28
	s_cbranch_scc1 .LBB41_21
; %bb.1:
	s_clause 0x2
	s_load_b512 s[4:19], s[0:1], 0x8
	s_load_b32 s29, s[0:1], 0x0
	s_load_b128 s[20:23], s[0:1], 0x48
	v_dual_mov_b32 v2, 0 :: v_dual_bitop2_b32 v3, 31, v0 bitop3:0x40
	v_mbcnt_lo_u32_b32 v8, -1, 0
	v_lshrrev_b32_e32 v4, 1, v0
	s_bfe_u32 s2, ttmp6, 0x4000c
	s_delay_alu instid0(VALU_DEP_3)
	v_mov_b32_e32 v1, v2
	s_add_co_i32 s2, s2, 1
	s_and_b32 s3, ttmp6, 15
	s_mul_i32 s27, ttmp9, s2
	v_cmp_gt_u32_e64 s2, 24, v8
	s_add_co_i32 s27, s3, s27
	v_dual_mov_b32 v5, v2 :: v_dual_lshlrev_b32 v18, 4, v3
	v_lshl_or_b32 v19, v8, 2, 64
	v_cndmask_b32_e64 v9, 0, 8, s2
	v_cmp_gt_u32_e64 s2, 28, v8
	s_wait_xcnt 0x0
	v_cmp_gt_u32_e64 s0, 32, v0
	s_wait_kmcnt 0x0
	v_mul_u64_e32 v[6:7], s[16:17], v[0:1]
	s_lshl_b64 s[14:15], s[14:15], 4
	s_lshl_b64 s[30:31], s[6:7], 4
	v_cndmask_b32_e64 v10, 0, 4, s2
	v_cmp_gt_u32_e64 s2, 30, v8
	v_cmp_gt_i32_e64 s3, s29, v0
	s_cmp_eq_u32 s26, 0
	v_and_b32_e32 v1, 0xf0, v4
	s_cselect_b32 s6, ttmp9, s27
	v_cndmask_b32_e64 v11, 0, 2, s2
	v_cmp_ne_u32_e64 s2, 31, v8
	s_ashr_i32 s7, s6, 31
	v_add_lshl_u32 v20, v9, v8, 2
	s_mul_u64 s[8:9], s[8:9], s[6:7]
	v_add_lshl_u32 v21, v10, v8, 2
	v_add_co_ci_u32_e64 v12, null, 0, v8, s2
	v_cmp_eq_u32_e64 s2, 0, v3
	v_cndmask_b32_e64 v3, 0, v0, s3
	s_lshl_b64 s[26:27], s[8:9], 4
	s_add_nc_u64 s[8:9], s[4:5], s[30:31]
	s_add_nc_u64 s[30:31], s[26:27], s[30:31]
	v_add_lshl_u32 v22, v11, v8, 2
	v_dual_lshlrev_b32 v4, 4, v3 :: v_dual_lshlrev_b32 v23, 2, v12
	s_add_nc_u64 s[4:5], s[4:5], s[30:31]
	v_cmp_gt_u32_e64 s1, 16, v0
	v_cmp_eq_u32_e32 vcc_lo, 0, v0
	s_delay_alu instid0(VALU_DEP_3)
	v_add_nc_u64_e32 v[8:9], s[8:9], v[4:5]
	s_add_nc_u64 s[8:9], s[12:13], s[14:15]
	v_add_nc_u64_e32 v[4:5], s[4:5], v[4:5]
	s_mul_u64 s[4:5], s[16:17], s[6:7]
	v_lshl_add_u64 v[6:7], v[6:7], 4, s[8:9]
	s_lshl_b64 s[12:13], s[6:7], 4
	s_lshl_b64 s[14:15], s[18:19], 4
	v_add_nc_u64_e32 v[8:9], s[26:27], v[8:9]
	s_add_nc_u64 s[12:13], s[20:21], s[12:13]
	v_add_nc_u64_e32 v[10:11], 8, v[6:7]
	v_add_nc_u64_e32 v[12:13], 8, v[4:5]
	s_lshl_b64 s[16:17], s[16:17], 13
	s_lshl_b64 s[20:21], s[10:11], 4
	s_lshl_b64 s[26:27], s[4:5], 4
	s_branch .LBB41_3
.LBB41_2:                               ;   in Loop: Header=BB41_3 Depth=1
	s_wait_xcnt 0x0
	s_or_b32 exec_lo, exec_lo, s4
	s_add_co_i32 s24, s24, 0x10000
	s_delay_alu instid0(SALU_CYCLE_1)
	s_cmp_lt_u32 s24, s28
	s_cbranch_scc0 .LBB41_21
.LBB41_3:                               ; =>This Loop Header: Depth=1
                                        ;     Child Loop BB41_15 Depth 2
	v_mov_b64_e32 v[14:15], 0
	s_wait_dscnt 0x0
	v_mov_b64_e32 v[6:7], 0
	s_and_saveexec_b32 s4, vcc_lo
	s_cbranch_execnz .LBB41_12
; %bb.4:                                ;   in Loop: Header=BB41_3 Depth=1
	s_or_b32 exec_lo, exec_lo, s4
	s_and_saveexec_b32 s5, s3
	s_cbranch_execnz .LBB41_13
.LBB41_5:                               ;   in Loop: Header=BB41_3 Depth=1
	s_or_b32 exec_lo, exec_lo, s5
	s_and_saveexec_b32 s4, s0
.LBB41_6:                               ;   in Loop: Header=BB41_3 Depth=1
	v_dual_mov_b32 v3, v2 :: v_dual_mov_b32 v4, v2
	v_mov_b32_e32 v5, v2
	ds_store_b128 v18, v[2:5]
.LBB41_7:                               ;   in Loop: Header=BB41_3 Depth=1
	s_or_b32 exec_lo, exec_lo, s4
	ds_bpermute_b32 v4, v19, v14
	ds_bpermute_b32 v5, v19, v15
	ds_bpermute_b32 v16, v19, v6
	ds_bpermute_b32 v17, v19, v7
	s_wait_dscnt 0x0
	s_barrier_signal -1
	s_barrier_wait -1
	v_add_f64_e32 v[4:5], v[14:15], v[4:5]
	v_add_f64_e32 v[6:7], v[6:7], v[16:17]
	ds_bpermute_b32 v14, v20, v4
	ds_bpermute_b32 v15, v20, v5
	ds_bpermute_b32 v16, v20, v6
	ds_bpermute_b32 v17, v20, v7
	s_wait_dscnt 0x2
	v_add_f64_e32 v[4:5], v[4:5], v[14:15]
	s_wait_dscnt 0x0
	v_add_f64_e32 v[6:7], v[6:7], v[16:17]
	ds_bpermute_b32 v14, v21, v4
	ds_bpermute_b32 v15, v21, v5
	ds_bpermute_b32 v16, v21, v6
	ds_bpermute_b32 v17, v21, v7
	s_wait_dscnt 0x2
	v_add_f64_e32 v[4:5], v[4:5], v[14:15]
	s_wait_dscnt 0x0
	v_add_f64_e32 v[6:7], v[6:7], v[16:17]
	ds_bpermute_b32 v14, v22, v4
	ds_bpermute_b32 v15, v22, v5
	ds_bpermute_b32 v16, v22, v6
	ds_bpermute_b32 v17, v22, v7
	s_wait_dscnt 0x2
	v_add_f64_e32 v[4:5], v[4:5], v[14:15]
	s_wait_dscnt 0x0
	v_add_f64_e32 v[14:15], v[6:7], v[16:17]
	ds_bpermute_b32 v6, v23, v4
	ds_bpermute_b32 v7, v23, v5
	;; [unrolled: 1-line block ×4, first 2 shown]
	s_and_saveexec_b32 s4, s2
	s_cbranch_execz .LBB41_9
; %bb.8:                                ;   in Loop: Header=BB41_3 Depth=1
	s_wait_dscnt 0x0
	v_add_f64_e32 v[16:17], v[14:15], v[16:17]
	v_add_f64_e32 v[14:15], v[4:5], v[6:7]
	ds_store_b128 v1, v[14:17]
.LBB41_9:                               ;   in Loop: Header=BB41_3 Depth=1
	s_or_b32 exec_lo, exec_lo, s4
	s_wait_dscnt 0x2
	v_mov_b64_e32 v[6:7], 0
	v_mov_b64_e32 v[4:5], 0
	s_wait_dscnt 0x0
	s_barrier_signal -1
	s_barrier_wait -1
	s_and_saveexec_b32 s4, s1
	s_cbranch_execnz .LBB41_17
; %bb.10:                               ;   in Loop: Header=BB41_3 Depth=1
	s_or_b32 exec_lo, exec_lo, s4
	s_and_saveexec_b32 s4, s0
	s_cbranch_execnz .LBB41_18
.LBB41_11:                              ;   in Loop: Header=BB41_3 Depth=1
	s_or_b32 exec_lo, exec_lo, s4
	s_and_saveexec_b32 s4, vcc_lo
	s_cbranch_execz .LBB41_2
	s_branch .LBB41_19
.LBB41_12:                              ;   in Loop: Header=BB41_3 Depth=1
	s_mul_u64 s[30:31], s[10:11], s[24:25]
	s_mul_u64 s[34:35], s[18:19], s[24:25]
	v_lshl_add_u64 v[4:5], s[30:31], 4, v[8:9]
	s_lshl_b64 s[30:31], s[34:35], 4
	s_delay_alu instid0(SALU_CYCLE_1) | instskip(NEXT) | instid1(SALU_CYCLE_1)
	s_add_nc_u64 s[30:31], s[8:9], s[30:31]
	s_add_nc_u64 s[30:31], s[30:31], s[26:27]
	s_delay_alu instid0(VALU_DEP_1)
	v_lshl_add_u64 v[24:25], s[6:7], 4, v[4:5]
	global_load_b128 v[4:7], v2, s[30:31]
	global_load_b128 v[14:17], v[24:25], off
	s_wait_loadcnt 0x0
	s_wait_xcnt 0x0
	v_mul_f64_e32 v[24:25], v[16:17], v[6:7]
	v_mul_f64_e32 v[16:17], v[16:17], v[4:5]
	s_delay_alu instid0(VALU_DEP_2) | instskip(NEXT) | instid1(VALU_DEP_2)
	v_fmac_f64_e32 v[24:25], v[14:15], v[4:5]
	v_fma_f64 v[4:5], v[14:15], v[6:7], -v[16:17]
	s_delay_alu instid0(VALU_DEP_2) | instskip(NEXT) | instid1(VALU_DEP_2)
	v_add_f64_e32 v[14:15], 0, v[24:25]
	v_add_f64_e32 v[6:7], 0, v[4:5]
	s_or_b32 exec_lo, exec_lo, s4
	s_and_saveexec_b32 s5, s3
	s_cbranch_execz .LBB41_5
.LBB41_13:                              ;   in Loop: Header=BB41_3 Depth=1
	v_mad_nc_u64_u32 v[4:5], s14, s24, v[10:11]
	v_mad_nc_u64_u32 v[16:17], s20, s24, v[12:13]
	v_mov_b32_e32 v3, v0
	s_mov_b32 s30, 0
	s_delay_alu instid0(VALU_DEP_3) | instskip(NEXT) | instid1(VALU_DEP_3)
	v_mad_u32 v5, s15, s24, v5
	v_mad_u32 v17, s21, s24, v17
	s_branch .LBB41_15
.LBB41_14:                              ;   in Loop: Header=BB41_15 Depth=2
	s_wait_xcnt 0x0
	s_or_b32 exec_lo, exec_lo, s31
	v_add_nc_u32_e32 v3, 0x200, v3
	s_delay_alu instid0(VALU_DEP_4) | instskip(NEXT) | instid1(VALU_DEP_4)
	v_add_nc_u64_e32 v[4:5], s[16:17], v[4:5]
	v_add_nc_u64_e32 v[16:17], 0x2000, v[16:17]
	s_delay_alu instid0(VALU_DEP_3) | instskip(SKIP_1) | instid1(SALU_CYCLE_1)
	v_cmp_le_i32_e64 s4, s29, v3
	s_or_b32 s30, s4, s30
	s_and_not1_b32 exec_lo, exec_lo, s30
	s_cbranch_execz .LBB41_20
.LBB41_15:                              ;   Parent Loop BB41_3 Depth=1
                                        ; =>  This Inner Loop Header: Depth=2
	s_mov_b32 s31, exec_lo
	v_cmpx_gt_i32_e64 s6, v3
	s_cbranch_execz .LBB41_14
; %bb.16:                               ;   in Loop: Header=BB41_15 Depth=2
	global_load_b128 v[24:27], v[16:17], off offset:-8
	global_load_b128 v[28:31], v[4:5], off offset:-8
	s_wait_loadcnt 0x0
	v_mul_f64_e32 v[32:33], v[26:27], v[30:31]
	v_mul_f64_e32 v[26:27], v[26:27], v[28:29]
	s_delay_alu instid0(VALU_DEP_2) | instskip(NEXT) | instid1(VALU_DEP_2)
	v_fmac_f64_e32 v[32:33], v[24:25], v[28:29]
	v_fma_f64 v[24:25], v[24:25], v[30:31], -v[26:27]
	s_delay_alu instid0(VALU_DEP_2) | instskip(NEXT) | instid1(VALU_DEP_2)
	v_add_f64_e32 v[14:15], v[14:15], v[32:33]
	v_add_f64_e32 v[6:7], v[6:7], v[24:25]
	s_branch .LBB41_14
.LBB41_17:                              ;   in Loop: Header=BB41_3 Depth=1
	ds_load_b128 v[4:7], v18
	s_or_b32 exec_lo, exec_lo, s4
	s_and_saveexec_b32 s4, s0
	s_cbranch_execz .LBB41_11
.LBB41_18:                              ;   in Loop: Header=BB41_3 Depth=1
	s_wait_dscnt 0x0
	ds_bpermute_b32 v14, v20, v4
	ds_bpermute_b32 v15, v20, v5
	ds_bpermute_b32 v16, v20, v6
	ds_bpermute_b32 v17, v20, v7
	s_wait_dscnt 0x2
	v_add_f64_e32 v[4:5], v[4:5], v[14:15]
	s_wait_dscnt 0x0
	v_add_f64_e32 v[6:7], v[6:7], v[16:17]
	ds_bpermute_b32 v14, v21, v4
	ds_bpermute_b32 v15, v21, v5
	ds_bpermute_b32 v16, v21, v6
	ds_bpermute_b32 v17, v21, v7
	s_wait_dscnt 0x2
	v_add_f64_e32 v[4:5], v[4:5], v[14:15]
	s_wait_dscnt 0x0
	v_add_f64_e32 v[6:7], v[6:7], v[16:17]
	;; [unrolled: 8-line block ×4, first 2 shown]
	s_or_b32 exec_lo, exec_lo, s4
	s_and_saveexec_b32 s4, vcc_lo
	s_cbranch_execz .LBB41_2
.LBB41_19:                              ;   in Loop: Header=BB41_3 Depth=1
	s_mul_u64 s[30:31], s[22:23], s[24:25]
	s_delay_alu instid0(SALU_CYCLE_1) | instskip(NEXT) | instid1(SALU_CYCLE_1)
	s_lshl_b64 s[30:31], s[30:31], 4
	s_add_nc_u64 s[30:31], s[12:13], s[30:31]
	s_wait_dscnt 0x0
	global_store_b128 v2, v[4:7], s[30:31]
	s_branch .LBB41_2
.LBB41_20:                              ;   in Loop: Header=BB41_3 Depth=1
	s_or_b32 exec_lo, exec_lo, s30
	s_delay_alu instid0(SALU_CYCLE_1)
	s_or_b32 exec_lo, exec_lo, s5
	s_and_saveexec_b32 s4, s0
	s_cbranch_execnz .LBB41_6
	s_branch .LBB41_7
.LBB41_21:
	s_endpgm
	.section	.rodata,"a",@progbits
	.p2align	6, 0x0
	.amdhsa_kernel _ZL20rocblas_trmvt_kernelILi512ELb0ELb1ELb0EPK19rocblas_complex_numIdEPS1_S4_EviT3_lllT4_lllT5_li
		.amdhsa_group_segment_fixed_size 512
		.amdhsa_private_segment_fixed_size 0
		.amdhsa_kernarg_size 92
		.amdhsa_user_sgpr_count 2
		.amdhsa_user_sgpr_dispatch_ptr 0
		.amdhsa_user_sgpr_queue_ptr 0
		.amdhsa_user_sgpr_kernarg_segment_ptr 1
		.amdhsa_user_sgpr_dispatch_id 0
		.amdhsa_user_sgpr_kernarg_preload_length 0
		.amdhsa_user_sgpr_kernarg_preload_offset 0
		.amdhsa_user_sgpr_private_segment_size 0
		.amdhsa_wavefront_size32 1
		.amdhsa_uses_dynamic_stack 0
		.amdhsa_enable_private_segment 0
		.amdhsa_system_sgpr_workgroup_id_x 1
		.amdhsa_system_sgpr_workgroup_id_y 0
		.amdhsa_system_sgpr_workgroup_id_z 1
		.amdhsa_system_sgpr_workgroup_info 0
		.amdhsa_system_vgpr_workitem_id 0
		.amdhsa_next_free_vgpr 34
		.amdhsa_next_free_sgpr 36
		.amdhsa_named_barrier_count 0
		.amdhsa_reserve_vcc 1
		.amdhsa_float_round_mode_32 0
		.amdhsa_float_round_mode_16_64 0
		.amdhsa_float_denorm_mode_32 3
		.amdhsa_float_denorm_mode_16_64 3
		.amdhsa_fp16_overflow 0
		.amdhsa_memory_ordered 1
		.amdhsa_forward_progress 1
		.amdhsa_inst_pref_size 12
		.amdhsa_round_robin_scheduling 0
		.amdhsa_exception_fp_ieee_invalid_op 0
		.amdhsa_exception_fp_denorm_src 0
		.amdhsa_exception_fp_ieee_div_zero 0
		.amdhsa_exception_fp_ieee_overflow 0
		.amdhsa_exception_fp_ieee_underflow 0
		.amdhsa_exception_fp_ieee_inexact 0
		.amdhsa_exception_int_div_zero 0
	.end_amdhsa_kernel
	.section	.text._ZL20rocblas_trmvt_kernelILi512ELb0ELb1ELb0EPK19rocblas_complex_numIdEPS1_S4_EviT3_lllT4_lllT5_li,"axG",@progbits,_ZL20rocblas_trmvt_kernelILi512ELb0ELb1ELb0EPK19rocblas_complex_numIdEPS1_S4_EviT3_lllT4_lllT5_li,comdat
.Lfunc_end41:
	.size	_ZL20rocblas_trmvt_kernelILi512ELb0ELb1ELb0EPK19rocblas_complex_numIdEPS1_S4_EviT3_lllT4_lllT5_li, .Lfunc_end41-_ZL20rocblas_trmvt_kernelILi512ELb0ELb1ELb0EPK19rocblas_complex_numIdEPS1_S4_EviT3_lllT4_lllT5_li
                                        ; -- End function
	.set _ZL20rocblas_trmvt_kernelILi512ELb0ELb1ELb0EPK19rocblas_complex_numIdEPS1_S4_EviT3_lllT4_lllT5_li.num_vgpr, 34
	.set _ZL20rocblas_trmvt_kernelILi512ELb0ELb1ELb0EPK19rocblas_complex_numIdEPS1_S4_EviT3_lllT4_lllT5_li.num_agpr, 0
	.set _ZL20rocblas_trmvt_kernelILi512ELb0ELb1ELb0EPK19rocblas_complex_numIdEPS1_S4_EviT3_lllT4_lllT5_li.numbered_sgpr, 36
	.set _ZL20rocblas_trmvt_kernelILi512ELb0ELb1ELb0EPK19rocblas_complex_numIdEPS1_S4_EviT3_lllT4_lllT5_li.num_named_barrier, 0
	.set _ZL20rocblas_trmvt_kernelILi512ELb0ELb1ELb0EPK19rocblas_complex_numIdEPS1_S4_EviT3_lllT4_lllT5_li.private_seg_size, 0
	.set _ZL20rocblas_trmvt_kernelILi512ELb0ELb1ELb0EPK19rocblas_complex_numIdEPS1_S4_EviT3_lllT4_lllT5_li.uses_vcc, 1
	.set _ZL20rocblas_trmvt_kernelILi512ELb0ELb1ELb0EPK19rocblas_complex_numIdEPS1_S4_EviT3_lllT4_lllT5_li.uses_flat_scratch, 0
	.set _ZL20rocblas_trmvt_kernelILi512ELb0ELb1ELb0EPK19rocblas_complex_numIdEPS1_S4_EviT3_lllT4_lllT5_li.has_dyn_sized_stack, 0
	.set _ZL20rocblas_trmvt_kernelILi512ELb0ELb1ELb0EPK19rocblas_complex_numIdEPS1_S4_EviT3_lllT4_lllT5_li.has_recursion, 0
	.set _ZL20rocblas_trmvt_kernelILi512ELb0ELb1ELb0EPK19rocblas_complex_numIdEPS1_S4_EviT3_lllT4_lllT5_li.has_indirect_call, 0
	.section	.AMDGPU.csdata,"",@progbits
; Kernel info:
; codeLenInByte = 1456
; TotalNumSgprs: 38
; NumVgprs: 34
; ScratchSize: 0
; MemoryBound: 0
; FloatMode: 240
; IeeeMode: 1
; LDSByteSize: 512 bytes/workgroup (compile time only)
; SGPRBlocks: 0
; VGPRBlocks: 2
; NumSGPRsForWavesPerEU: 38
; NumVGPRsForWavesPerEU: 34
; NamedBarCnt: 0
; Occupancy: 16
; WaveLimiterHint : 0
; COMPUTE_PGM_RSRC2:SCRATCH_EN: 0
; COMPUTE_PGM_RSRC2:USER_SGPR: 2
; COMPUTE_PGM_RSRC2:TRAP_HANDLER: 0
; COMPUTE_PGM_RSRC2:TGID_X_EN: 1
; COMPUTE_PGM_RSRC2:TGID_Y_EN: 0
; COMPUTE_PGM_RSRC2:TGID_Z_EN: 1
; COMPUTE_PGM_RSRC2:TIDIG_COMP_CNT: 0
	.section	.text._ZL20rocblas_trmvn_kernelILi64ELi16ELb1ELb1EPK19rocblas_complex_numIdEPS1_S4_EviT3_lllT4_lllT5_li,"axG",@progbits,_ZL20rocblas_trmvn_kernelILi64ELi16ELb1ELb1EPK19rocblas_complex_numIdEPS1_S4_EviT3_lllT4_lllT5_li,comdat
	.globl	_ZL20rocblas_trmvn_kernelILi64ELi16ELb1ELb1EPK19rocblas_complex_numIdEPS1_S4_EviT3_lllT4_lllT5_li ; -- Begin function _ZL20rocblas_trmvn_kernelILi64ELi16ELb1ELb1EPK19rocblas_complex_numIdEPS1_S4_EviT3_lllT4_lllT5_li
	.p2align	8
	.type	_ZL20rocblas_trmvn_kernelILi64ELi16ELb1ELb1EPK19rocblas_complex_numIdEPS1_S4_EviT3_lllT4_lllT5_li,@function
_ZL20rocblas_trmvn_kernelILi64ELi16ELb1ELb1EPK19rocblas_complex_numIdEPS1_S4_EviT3_lllT4_lllT5_li: ; @_ZL20rocblas_trmvn_kernelILi64ELi16ELb1ELb1EPK19rocblas_complex_numIdEPS1_S4_EviT3_lllT4_lllT5_li
; %bb.0:
	s_load_b32 s3, s[0:1], 0x58
	s_bfe_u32 s2, ttmp6, 0x40014
	s_lshr_b32 s4, ttmp7, 16
	s_add_co_i32 s2, s2, 1
	s_bfe_u32 s6, ttmp6, 0x40008
	s_mul_i32 s5, s4, s2
	s_getreg_b32 s2, hwreg(HW_REG_IB_STS2, 6, 4)
	s_add_co_i32 s6, s6, s5
	s_cmp_eq_u32 s2, 0
	s_mov_b32 s25, 0
	s_cselect_b32 s24, s4, s6
	s_wait_kmcnt 0x0
	s_cmp_ge_u32 s24, s3
	s_cbranch_scc1 .LBB42_14
; %bb.1:
	s_clause 0x1
	s_load_b512 s[4:19], s[0:1], 0x8
	s_load_b32 s20, s[0:1], 0x6c
	v_and_b32_e32 v12, 0x3ff, v0
	v_bfe_u32 v4, v0, 10, 10
	s_delay_alu instid0(VALU_DEP_2) | instskip(NEXT) | instid1(VALU_DEP_2)
	v_lshlrev_b32_e32 v16, 4, v12
	v_lshlrev_b32_e32 v17, 10, v4
	s_wait_kmcnt 0x0
	s_lshl_b64 s[26:27], s[14:15], 4
	s_bfe_u32 s14, ttmp6, 0x4000c
	s_and_b32 s15, s20, 0xffff
	s_add_co_i32 s14, s14, 1
	s_and_b32 s20, ttmp6, 15
	s_mul_i32 s14, ttmp9, s14
	s_delay_alu instid0(SALU_CYCLE_1)
	s_add_co_i32 s20, s20, s14
	s_cmp_eq_u32 s2, 0
	s_load_b32 s14, s[0:1], 0x0
	s_cselect_b32 s2, ttmp9, s20
	s_load_b128 s[20:23], s[0:1], 0x48
	v_lshl_add_u32 v6, s2, 6, v12
	v_mov_b32_e32 v5, 0
	s_wait_xcnt 0x0
	s_lshl_b64 s[0:1], s[6:7], 4
	s_add_nc_u64 s[6:7], s[12:13], s[26:27]
	s_lshl_b64 s[12:13], s[16:17], 8
	v_ashrrev_i32_e32 v7, 31, v6
	v_mul_u64_e32 v[2:3], s[8:9], v[4:5]
	v_mul_u64_e32 v[0:1], s[16:17], v[4:5]
	v_mul_u32_u24_e32 v5, s15, v4
	s_lshl_b64 s[10:11], s[10:11], 4
	v_mul_u64_e32 v[8:9], s[16:17], v[6:7]
	v_lshlrev_b64_e32 v[10:11], 4, v[6:7]
	v_mad_u32_u24 v7, v4, s15, v12
	v_lshl_add_u32 v5, v5, 4, v16
	s_lshl_b64 s[8:9], s[8:9], 8
	s_wait_kmcnt 0x0
	v_cmp_gt_i32_e32 vcc_lo, s14, v6
	v_lshl_add_u64 v[2:3], v[2:3], 4, s[0:1]
	v_lshl_add_u64 v[0:1], v[0:1], 4, s[6:7]
	v_cmp_eq_u32_e64 s0, 0, v4
	v_cmp_gt_u32_e64 s1, 64, v7
	v_add_nc_u32_e32 v7, v16, v17
	v_add_nc_u64_e32 v[2:3], v[2:3], v[10:11]
	v_add_nc_u64_e32 v[10:11], s[20:21], v[10:11]
	;; [unrolled: 1-line block ×3, first 2 shown]
	s_and_b32 s15, s0, vcc_lo
	v_cmp_gt_i32_e64 s0, s14, v4
	s_delay_alu instid0(VALU_DEP_4) | instskip(SKIP_1) | instid1(VALU_DEP_1)
	v_add_nc_u64_e32 v[2:3], s[4:5], v[2:3]
	s_lshl_b64 s[4:5], s[18:19], 4
	v_add_nc_u64_e32 v[14:15], 8, v[2:3]
	s_branch .LBB42_3
.LBB42_2:                               ;   in Loop: Header=BB42_3 Depth=1
	s_wait_xcnt 0x0
	s_or_b32 exec_lo, exec_lo, s2
	s_add_co_i32 s24, s24, 0x10000
	s_delay_alu instid0(SALU_CYCLE_1)
	s_cmp_lt_u32 s24, s3
	s_cbranch_scc0 .LBB42_14
.LBB42_3:                               ; =>This Loop Header: Depth=1
                                        ;     Child Loop BB42_8 Depth 2
	v_mov_b64_e32 v[0:1], 0
	v_mov_b64_e32 v[2:3], 0
	s_and_saveexec_b32 s2, s15
	s_cbranch_execz .LBB42_5
; %bb.4:                                ;   in Loop: Header=BB42_3 Depth=1
	s_mul_u64 s[16:17], s[18:19], s[24:25]
	s_delay_alu instid0(SALU_CYCLE_1) | instskip(NEXT) | instid1(SALU_CYCLE_1)
	s_lshl_b64 s[16:17], s[16:17], 4
	s_add_nc_u64 s[16:17], s[6:7], s[16:17]
	s_delay_alu instid0(SALU_CYCLE_1)
	v_lshl_add_u64 v[0:1], v[8:9], 4, s[16:17]
	global_load_b128 v[0:3], v[0:1], off
.LBB42_5:                               ;   in Loop: Header=BB42_3 Depth=1
	s_wait_xcnt 0x0
	s_or_b32 exec_lo, exec_lo, s2
	s_and_saveexec_b32 s16, s0
	s_cbranch_execz .LBB42_11
; %bb.6:                                ;   in Loop: Header=BB42_3 Depth=1
	v_mad_nc_u64_u32 v[16:17], s4, s24, v[12:13]
	v_mad_nc_u64_u32 v[18:19], s10, s24, v[14:15]
	v_mov_b32_e32 v20, v4
	s_mov_b32 s17, 0
	s_delay_alu instid0(VALU_DEP_3) | instskip(NEXT) | instid1(VALU_DEP_3)
	v_mad_u32 v17, s5, s24, v17
	v_mad_u32 v19, s11, s24, v19
	s_branch .LBB42_8
.LBB42_7:                               ;   in Loop: Header=BB42_8 Depth=2
	s_wait_xcnt 0x0
	s_or_b32 exec_lo, exec_lo, s2
	v_add_nc_u32_e32 v20, 16, v20
	v_add_nc_u64_e32 v[16:17], s[12:13], v[16:17]
	v_add_nc_u64_e32 v[18:19], s[8:9], v[18:19]
	s_delay_alu instid0(VALU_DEP_3) | instskip(SKIP_1) | instid1(SALU_CYCLE_1)
	v_cmp_le_i32_e64 s2, s14, v20
	s_or_b32 s17, s2, s17
	s_and_not1_b32 exec_lo, exec_lo, s17
	s_cbranch_execz .LBB42_10
.LBB42_8:                               ;   Parent Loop BB42_3 Depth=1
                                        ; =>  This Inner Loop Header: Depth=2
	v_cmp_lt_i32_e64 s2, v20, v6
	s_and_b32 s20, vcc_lo, s2
	s_delay_alu instid0(SALU_CYCLE_1)
	s_and_saveexec_b32 s2, s20
	s_cbranch_execz .LBB42_7
; %bb.9:                                ;   in Loop: Header=BB42_8 Depth=2
	global_load_b128 v[22:25], v[16:17], off offset:-8
	global_load_b128 v[26:29], v[18:19], off offset:-8
	s_wait_loadcnt 0x0
	v_mul_f64_e32 v[30:31], v[24:25], v[28:29]
	v_mul_f64_e32 v[28:29], v[22:23], v[28:29]
	s_delay_alu instid0(VALU_DEP_2) | instskip(NEXT) | instid1(VALU_DEP_2)
	v_fma_f64 v[22:23], v[22:23], v[26:27], -v[30:31]
	v_fmac_f64_e32 v[28:29], v[24:25], v[26:27]
	s_delay_alu instid0(VALU_DEP_2) | instskip(NEXT) | instid1(VALU_DEP_2)
	v_add_f64_e32 v[0:1], v[0:1], v[22:23]
	v_add_f64_e32 v[2:3], v[2:3], v[28:29]
	s_branch .LBB42_7
.LBB42_10:                              ;   in Loop: Header=BB42_3 Depth=1
	s_or_b32 exec_lo, exec_lo, s17
.LBB42_11:                              ;   in Loop: Header=BB42_3 Depth=1
	s_delay_alu instid0(SALU_CYCLE_1)
	s_or_b32 exec_lo, exec_lo, s16
	s_wait_loadcnt 0x0
	ds_store_b128 v7, v[0:3]
	s_wait_dscnt 0x0
	s_barrier_signal -1
	s_barrier_wait -1
	s_and_saveexec_b32 s2, s1
	s_cbranch_execz .LBB42_2
; %bb.12:                               ;   in Loop: Header=BB42_3 Depth=1
	ds_load_b128 v[0:3], v5
	ds_load_b128 v[16:19], v5 offset:1024
	s_wait_dscnt 0x0
	v_add_f64_e32 v[20:21], v[0:1], v[16:17]
	v_add_f64_e32 v[22:23], v[2:3], v[18:19]
	ds_load_b128 v[0:3], v5 offset:2048
	ds_load_b128 v[16:19], v5 offset:3072
	s_wait_dscnt 0x1
	v_add_f64_e32 v[0:1], v[20:21], v[0:1]
	v_add_f64_e32 v[2:3], v[22:23], v[2:3]
	s_wait_dscnt 0x0
	s_delay_alu instid0(VALU_DEP_2) | instskip(NEXT) | instid1(VALU_DEP_2)
	v_add_f64_e32 v[20:21], v[0:1], v[16:17]
	v_add_f64_e32 v[22:23], v[2:3], v[18:19]
	ds_load_b128 v[0:3], v5 offset:4096
	ds_load_b128 v[16:19], v5 offset:5120
	s_wait_dscnt 0x1
	v_add_f64_e32 v[0:1], v[20:21], v[0:1]
	v_add_f64_e32 v[2:3], v[22:23], v[2:3]
	s_wait_dscnt 0x0
	s_delay_alu instid0(VALU_DEP_2) | instskip(NEXT) | instid1(VALU_DEP_2)
	;; [unrolled: 9-line block ×7, first 2 shown]
	v_add_f64_e32 v[0:1], v[0:1], v[16:17]
	v_add_f64_e32 v[2:3], v[2:3], v[18:19]
	ds_store_b128 v5, v[0:3]
	s_and_b32 exec_lo, exec_lo, vcc_lo
	s_cbranch_execz .LBB42_2
; %bb.13:                               ;   in Loop: Header=BB42_3 Depth=1
	ds_load_2addr_b64 v[0:3], v5 offset1:1
	s_mul_u64 s[16:17], s[22:23], s[24:25]
	s_delay_alu instid0(SALU_CYCLE_1)
	v_lshl_add_u64 v[16:17], s[16:17], 4, v[10:11]
	s_wait_dscnt 0x0
	global_store_b128 v[16:17], v[0:3], off
	s_branch .LBB42_2
.LBB42_14:
	s_endpgm
	.section	.rodata,"a",@progbits
	.p2align	6, 0x0
	.amdhsa_kernel _ZL20rocblas_trmvn_kernelILi64ELi16ELb1ELb1EPK19rocblas_complex_numIdEPS1_S4_EviT3_lllT4_lllT5_li
		.amdhsa_group_segment_fixed_size 16384
		.amdhsa_private_segment_fixed_size 0
		.amdhsa_kernarg_size 352
		.amdhsa_user_sgpr_count 2
		.amdhsa_user_sgpr_dispatch_ptr 0
		.amdhsa_user_sgpr_queue_ptr 0
		.amdhsa_user_sgpr_kernarg_segment_ptr 1
		.amdhsa_user_sgpr_dispatch_id 0
		.amdhsa_user_sgpr_kernarg_preload_length 0
		.amdhsa_user_sgpr_kernarg_preload_offset 0
		.amdhsa_user_sgpr_private_segment_size 0
		.amdhsa_wavefront_size32 1
		.amdhsa_uses_dynamic_stack 0
		.amdhsa_enable_private_segment 0
		.amdhsa_system_sgpr_workgroup_id_x 1
		.amdhsa_system_sgpr_workgroup_id_y 0
		.amdhsa_system_sgpr_workgroup_id_z 1
		.amdhsa_system_sgpr_workgroup_info 0
		.amdhsa_system_vgpr_workitem_id 1
		.amdhsa_next_free_vgpr 32
		.amdhsa_next_free_sgpr 28
		.amdhsa_named_barrier_count 0
		.amdhsa_reserve_vcc 1
		.amdhsa_float_round_mode_32 0
		.amdhsa_float_round_mode_16_64 0
		.amdhsa_float_denorm_mode_32 3
		.amdhsa_float_denorm_mode_16_64 3
		.amdhsa_fp16_overflow 0
		.amdhsa_memory_ordered 1
		.amdhsa_forward_progress 1
		.amdhsa_inst_pref_size 9
		.amdhsa_round_robin_scheduling 0
		.amdhsa_exception_fp_ieee_invalid_op 0
		.amdhsa_exception_fp_denorm_src 0
		.amdhsa_exception_fp_ieee_div_zero 0
		.amdhsa_exception_fp_ieee_overflow 0
		.amdhsa_exception_fp_ieee_underflow 0
		.amdhsa_exception_fp_ieee_inexact 0
		.amdhsa_exception_int_div_zero 0
	.end_amdhsa_kernel
	.section	.text._ZL20rocblas_trmvn_kernelILi64ELi16ELb1ELb1EPK19rocblas_complex_numIdEPS1_S4_EviT3_lllT4_lllT5_li,"axG",@progbits,_ZL20rocblas_trmvn_kernelILi64ELi16ELb1ELb1EPK19rocblas_complex_numIdEPS1_S4_EviT3_lllT4_lllT5_li,comdat
.Lfunc_end42:
	.size	_ZL20rocblas_trmvn_kernelILi64ELi16ELb1ELb1EPK19rocblas_complex_numIdEPS1_S4_EviT3_lllT4_lllT5_li, .Lfunc_end42-_ZL20rocblas_trmvn_kernelILi64ELi16ELb1ELb1EPK19rocblas_complex_numIdEPS1_S4_EviT3_lllT4_lllT5_li
                                        ; -- End function
	.set _ZL20rocblas_trmvn_kernelILi64ELi16ELb1ELb1EPK19rocblas_complex_numIdEPS1_S4_EviT3_lllT4_lllT5_li.num_vgpr, 32
	.set _ZL20rocblas_trmvn_kernelILi64ELi16ELb1ELb1EPK19rocblas_complex_numIdEPS1_S4_EviT3_lllT4_lllT5_li.num_agpr, 0
	.set _ZL20rocblas_trmvn_kernelILi64ELi16ELb1ELb1EPK19rocblas_complex_numIdEPS1_S4_EviT3_lllT4_lllT5_li.numbered_sgpr, 28
	.set _ZL20rocblas_trmvn_kernelILi64ELi16ELb1ELb1EPK19rocblas_complex_numIdEPS1_S4_EviT3_lllT4_lllT5_li.num_named_barrier, 0
	.set _ZL20rocblas_trmvn_kernelILi64ELi16ELb1ELb1EPK19rocblas_complex_numIdEPS1_S4_EviT3_lllT4_lllT5_li.private_seg_size, 0
	.set _ZL20rocblas_trmvn_kernelILi64ELi16ELb1ELb1EPK19rocblas_complex_numIdEPS1_S4_EviT3_lllT4_lllT5_li.uses_vcc, 1
	.set _ZL20rocblas_trmvn_kernelILi64ELi16ELb1ELb1EPK19rocblas_complex_numIdEPS1_S4_EviT3_lllT4_lllT5_li.uses_flat_scratch, 0
	.set _ZL20rocblas_trmvn_kernelILi64ELi16ELb1ELb1EPK19rocblas_complex_numIdEPS1_S4_EviT3_lllT4_lllT5_li.has_dyn_sized_stack, 0
	.set _ZL20rocblas_trmvn_kernelILi64ELi16ELb1ELb1EPK19rocblas_complex_numIdEPS1_S4_EviT3_lllT4_lllT5_li.has_recursion, 0
	.set _ZL20rocblas_trmvn_kernelILi64ELi16ELb1ELb1EPK19rocblas_complex_numIdEPS1_S4_EviT3_lllT4_lllT5_li.has_indirect_call, 0
	.section	.AMDGPU.csdata,"",@progbits
; Kernel info:
; codeLenInByte = 1076
; TotalNumSgprs: 30
; NumVgprs: 32
; ScratchSize: 0
; MemoryBound: 1
; FloatMode: 240
; IeeeMode: 1
; LDSByteSize: 16384 bytes/workgroup (compile time only)
; SGPRBlocks: 0
; VGPRBlocks: 1
; NumSGPRsForWavesPerEU: 30
; NumVGPRsForWavesPerEU: 32
; NamedBarCnt: 0
; Occupancy: 16
; WaveLimiterHint : 0
; COMPUTE_PGM_RSRC2:SCRATCH_EN: 0
; COMPUTE_PGM_RSRC2:USER_SGPR: 2
; COMPUTE_PGM_RSRC2:TRAP_HANDLER: 0
; COMPUTE_PGM_RSRC2:TGID_X_EN: 1
; COMPUTE_PGM_RSRC2:TGID_Y_EN: 0
; COMPUTE_PGM_RSRC2:TGID_Z_EN: 1
; COMPUTE_PGM_RSRC2:TIDIG_COMP_CNT: 1
	.section	.text._ZL20rocblas_trmvt_kernelILi512ELb1ELb0ELb1EPK19rocblas_complex_numIdEPS1_S4_EviT3_lllT4_lllT5_li,"axG",@progbits,_ZL20rocblas_trmvt_kernelILi512ELb1ELb0ELb1EPK19rocblas_complex_numIdEPS1_S4_EviT3_lllT4_lllT5_li,comdat
	.globl	_ZL20rocblas_trmvt_kernelILi512ELb1ELb0ELb1EPK19rocblas_complex_numIdEPS1_S4_EviT3_lllT4_lllT5_li ; -- Begin function _ZL20rocblas_trmvt_kernelILi512ELb1ELb0ELb1EPK19rocblas_complex_numIdEPS1_S4_EviT3_lllT4_lllT5_li
	.p2align	8
	.type	_ZL20rocblas_trmvt_kernelILi512ELb1ELb0ELb1EPK19rocblas_complex_numIdEPS1_S4_EviT3_lllT4_lllT5_li,@function
_ZL20rocblas_trmvt_kernelILi512ELb1ELb0ELb1EPK19rocblas_complex_numIdEPS1_S4_EviT3_lllT4_lllT5_li: ; @_ZL20rocblas_trmvt_kernelILi512ELb1ELb0ELb1EPK19rocblas_complex_numIdEPS1_S4_EviT3_lllT4_lllT5_li
; %bb.0:
	s_load_b32 s26, s[0:1], 0x58
	s_bfe_u32 s2, ttmp6, 0x40014
	s_lshr_b32 s4, ttmp7, 16
	s_add_co_i32 s2, s2, 1
	s_bfe_u32 s5, ttmp6, 0x40008
	s_mul_i32 s2, s4, s2
	s_getreg_b32 s3, hwreg(HW_REG_IB_STS2, 6, 4)
	s_add_co_i32 s5, s5, s2
	s_cmp_eq_u32 s3, 0
	s_mov_b32 s25, 0
	s_cselect_b32 s24, s4, s5
	s_wait_kmcnt 0x0
	s_cmp_ge_u32 s24, s26
	s_cbranch_scc1 .LBB43_21
; %bb.1:
	s_clause 0x2
	s_load_b512 s[4:19], s[0:1], 0x8
	s_load_b32 s27, s[0:1], 0x0
	s_load_b128 s[20:23], s[0:1], 0x48
	v_dual_mov_b32 v2, 0 :: v_dual_bitop2_b32 v3, 31, v0 bitop3:0x40
	v_mbcnt_lo_u32_b32 v8, -1, 0
	s_wait_xcnt 0x0
	s_bfe_u32 s1, ttmp6, 0x4000c
	s_delay_alu instid0(VALU_DEP_2)
	v_dual_mov_b32 v1, v2 :: v_dual_lshrrev_b32 v6, 1, v0
	s_add_co_i32 s2, s1, 1
	s_and_b32 s28, ttmp6, 15
	s_mul_i32 s29, ttmp9, s2
	v_cmp_gt_u32_e64 s2, 24, v8
	s_add_co_i32 s30, s28, s29
	v_and_b32_e32 v17, 0xf0, v6
	v_lshl_or_b32 v16, v8, 2, 64
	v_cmp_gt_u32_e64 s0, 32, v0
	v_cndmask_b32_e64 v9, 0, 8, s2
	v_cmp_gt_u32_e64 s2, 28, v8
	v_cmp_gt_u32_e64 s1, 16, v0
	s_wait_kmcnt 0x0
	v_mul_u64_e32 v[4:5], s[16:17], v[0:1]
	s_lshl_b64 s[28:29], s[14:15], 4
	s_cmp_eq_u32 s3, 0
	v_cndmask_b32_e64 v10, 0, 4, s2
	v_cmp_gt_u32_e64 s2, 30, v8
	v_cmp_gt_i32_e64 s3, s27, v0
	s_cselect_b32 s14, ttmp9, s30
	v_dual_lshlrev_b32 v1, 4, v3 :: v_dual_mov_b32 v7, v2
	v_cndmask_b32_e64 v11, 0, 2, s2
	v_cmp_ne_u32_e64 s2, 31, v8
	s_ashr_i32 s15, s14, 31
	s_lshl_b64 s[6:7], s[6:7], 4
	s_mul_u64 s[8:9], s[8:9], s[14:15]
	v_add_lshl_u32 v18, v9, v8, 2
	v_add_co_ci_u32_e64 v12, null, 0, v8, s2
	v_cmp_eq_u32_e64 s2, 0, v3
	v_cndmask_b32_e64 v3, 0, v0, s3
	s_lshl_b64 s[8:9], s[8:9], 4
	v_lshlrev_b32_e32 v21, 2, v12
	s_add_nc_u64 s[6:7], s[8:9], s[6:7]
	v_add_lshl_u32 v19, v10, v8, 2
	v_lshlrev_b32_e32 v6, 4, v3
	s_add_nc_u64 s[4:5], s[4:5], s[6:7]
	s_add_nc_u64 s[6:7], s[12:13], s[28:29]
	v_add_lshl_u32 v20, v11, v8, 2
	s_lshl_b64 s[8:9], s[14:15], 4
	v_add_nc_u64_e32 v[6:7], s[4:5], v[6:7]
	s_mul_u64 s[4:5], s[16:17], s[14:15]
	s_add_nc_u64 s[8:9], s[20:21], s[8:9]
	s_lshl_b64 s[12:13], s[18:19], 4
	v_lshl_add_u64 v[4:5], v[4:5], 4, s[6:7]
	s_lshl_b64 s[16:17], s[16:17], 13
	s_lshl_b64 s[10:11], s[10:11], 4
	v_add_nc_u64_e32 v[10:11], 8, v[6:7]
	s_lshl_b64 s[20:21], s[4:5], 4
	v_add_nc_u64_e32 v[8:9], 8, v[4:5]
	v_cmp_eq_u32_e32 vcc_lo, 0, v0
	s_branch .LBB43_3
.LBB43_2:                               ;   in Loop: Header=BB43_3 Depth=1
	s_wait_xcnt 0x0
	s_or_b32 exec_lo, exec_lo, s4
	s_add_co_i32 s24, s24, 0x10000
	s_delay_alu instid0(SALU_CYCLE_1)
	s_cmp_lt_u32 s24, s26
	s_cbranch_scc0 .LBB43_21
.LBB43_3:                               ; =>This Loop Header: Depth=1
                                        ;     Child Loop BB43_15 Depth 2
	v_mov_b64_e32 v[12:13], 0
	s_wait_dscnt 0x0
	v_mov_b64_e32 v[6:7], 0
	s_and_saveexec_b32 s4, vcc_lo
	s_cbranch_execnz .LBB43_12
; %bb.4:                                ;   in Loop: Header=BB43_3 Depth=1
	s_or_b32 exec_lo, exec_lo, s4
	s_and_saveexec_b32 s5, s3
	s_cbranch_execnz .LBB43_13
.LBB43_5:                               ;   in Loop: Header=BB43_3 Depth=1
	s_or_b32 exec_lo, exec_lo, s5
	s_and_saveexec_b32 s4, s0
.LBB43_6:                               ;   in Loop: Header=BB43_3 Depth=1
	v_dual_mov_b32 v3, v2 :: v_dual_mov_b32 v4, v2
	v_mov_b32_e32 v5, v2
	ds_store_b128 v1, v[2:5]
.LBB43_7:                               ;   in Loop: Header=BB43_3 Depth=1
	s_or_b32 exec_lo, exec_lo, s4
	ds_bpermute_b32 v4, v16, v12
	ds_bpermute_b32 v5, v16, v13
	;; [unrolled: 1-line block ×4, first 2 shown]
	s_wait_dscnt 0x0
	s_barrier_signal -1
	s_barrier_wait -1
	v_add_f64_e32 v[4:5], v[12:13], v[4:5]
	v_add_f64_e32 v[6:7], v[6:7], v[14:15]
	ds_bpermute_b32 v12, v18, v4
	ds_bpermute_b32 v13, v18, v5
	ds_bpermute_b32 v14, v18, v6
	ds_bpermute_b32 v15, v18, v7
	s_wait_dscnt 0x2
	v_add_f64_e32 v[4:5], v[4:5], v[12:13]
	s_wait_dscnt 0x0
	v_add_f64_e32 v[6:7], v[6:7], v[14:15]
	ds_bpermute_b32 v12, v19, v4
	ds_bpermute_b32 v13, v19, v5
	ds_bpermute_b32 v14, v19, v6
	ds_bpermute_b32 v15, v19, v7
	s_wait_dscnt 0x2
	v_add_f64_e32 v[4:5], v[4:5], v[12:13]
	s_wait_dscnt 0x0
	;; [unrolled: 8-line block ×3, first 2 shown]
	v_add_f64_e32 v[12:13], v[6:7], v[14:15]
	ds_bpermute_b32 v6, v21, v4
	ds_bpermute_b32 v7, v21, v5
	;; [unrolled: 1-line block ×4, first 2 shown]
	s_and_saveexec_b32 s4, s2
	s_cbranch_execz .LBB43_9
; %bb.8:                                ;   in Loop: Header=BB43_3 Depth=1
	s_wait_dscnt 0x0
	v_add_f64_e32 v[14:15], v[12:13], v[14:15]
	v_add_f64_e32 v[12:13], v[4:5], v[6:7]
	ds_store_b128 v17, v[12:15]
.LBB43_9:                               ;   in Loop: Header=BB43_3 Depth=1
	s_or_b32 exec_lo, exec_lo, s4
	s_wait_dscnt 0x2
	v_mov_b64_e32 v[6:7], 0
	v_mov_b64_e32 v[4:5], 0
	s_wait_dscnt 0x0
	s_barrier_signal -1
	s_barrier_wait -1
	s_and_saveexec_b32 s4, s1
	s_cbranch_execnz .LBB43_17
; %bb.10:                               ;   in Loop: Header=BB43_3 Depth=1
	s_or_b32 exec_lo, exec_lo, s4
	s_and_saveexec_b32 s4, s0
	s_cbranch_execnz .LBB43_18
.LBB43_11:                              ;   in Loop: Header=BB43_3 Depth=1
	s_or_b32 exec_lo, exec_lo, s4
	s_and_saveexec_b32 s4, vcc_lo
	s_cbranch_execz .LBB43_2
	s_branch .LBB43_19
.LBB43_12:                              ;   in Loop: Header=BB43_3 Depth=1
	s_mul_u64 s[28:29], s[18:19], s[24:25]
	s_delay_alu instid0(SALU_CYCLE_1) | instskip(NEXT) | instid1(SALU_CYCLE_1)
	s_lshl_b64 s[28:29], s[28:29], 4
	s_add_nc_u64 s[28:29], s[6:7], s[28:29]
	s_delay_alu instid0(SALU_CYCLE_1)
	s_add_nc_u64 s[28:29], s[28:29], s[20:21]
	global_load_b128 v[4:7], v2, s[28:29]
	s_wait_loadcnt 0x0
	v_add_f64_e32 v[12:13], 0, v[4:5]
	v_add_f64_e32 v[6:7], 0, v[6:7]
	s_wait_xcnt 0x0
	s_or_b32 exec_lo, exec_lo, s4
	s_and_saveexec_b32 s5, s3
	s_cbranch_execz .LBB43_5
.LBB43_13:                              ;   in Loop: Header=BB43_3 Depth=1
	v_mad_nc_u64_u32 v[4:5], s12, s24, v[8:9]
	v_mad_nc_u64_u32 v[14:15], s10, s24, v[10:11]
	v_mov_b32_e32 v3, v0
	s_mov_b32 s15, 0
	s_delay_alu instid0(VALU_DEP_3) | instskip(NEXT) | instid1(VALU_DEP_3)
	v_mad_u32 v5, s13, s24, v5
	v_mad_u32 v15, s11, s24, v15
	s_branch .LBB43_15
.LBB43_14:                              ;   in Loop: Header=BB43_15 Depth=2
	s_wait_xcnt 0x0
	s_or_b32 exec_lo, exec_lo, s28
	v_add_nc_u32_e32 v3, 0x200, v3
	s_delay_alu instid0(VALU_DEP_4) | instskip(NEXT) | instid1(VALU_DEP_4)
	v_add_nc_u64_e32 v[4:5], s[16:17], v[4:5]
	v_add_nc_u64_e32 v[14:15], 0x2000, v[14:15]
	s_delay_alu instid0(VALU_DEP_3) | instskip(SKIP_1) | instid1(SALU_CYCLE_1)
	v_cmp_le_i32_e64 s4, s27, v3
	s_or_b32 s15, s4, s15
	s_and_not1_b32 exec_lo, exec_lo, s15
	s_cbranch_execz .LBB43_20
.LBB43_15:                              ;   Parent Loop BB43_3 Depth=1
                                        ; =>  This Inner Loop Header: Depth=2
	s_mov_b32 s28, exec_lo
	v_cmpx_lt_i32_e64 s14, v3
	s_cbranch_execz .LBB43_14
; %bb.16:                               ;   in Loop: Header=BB43_15 Depth=2
	global_load_b128 v[22:25], v[14:15], off offset:-8
	global_load_b128 v[26:29], v[4:5], off offset:-8
	s_wait_loadcnt 0x0
	v_mul_f64_e32 v[30:31], v[24:25], v[28:29]
	v_mul_f64_e32 v[28:29], v[22:23], v[28:29]
	s_delay_alu instid0(VALU_DEP_2) | instskip(NEXT) | instid1(VALU_DEP_2)
	v_fma_f64 v[22:23], v[22:23], v[26:27], -v[30:31]
	v_fmac_f64_e32 v[28:29], v[24:25], v[26:27]
	s_delay_alu instid0(VALU_DEP_2) | instskip(NEXT) | instid1(VALU_DEP_2)
	v_add_f64_e32 v[12:13], v[12:13], v[22:23]
	v_add_f64_e32 v[6:7], v[6:7], v[28:29]
	s_branch .LBB43_14
.LBB43_17:                              ;   in Loop: Header=BB43_3 Depth=1
	ds_load_b128 v[4:7], v1
	s_or_b32 exec_lo, exec_lo, s4
	s_and_saveexec_b32 s4, s0
	s_cbranch_execz .LBB43_11
.LBB43_18:                              ;   in Loop: Header=BB43_3 Depth=1
	s_wait_dscnt 0x0
	ds_bpermute_b32 v12, v18, v4
	ds_bpermute_b32 v13, v18, v5
	ds_bpermute_b32 v14, v18, v6
	ds_bpermute_b32 v15, v18, v7
	s_wait_dscnt 0x2
	v_add_f64_e32 v[4:5], v[4:5], v[12:13]
	s_wait_dscnt 0x0
	v_add_f64_e32 v[6:7], v[6:7], v[14:15]
	ds_bpermute_b32 v12, v19, v4
	ds_bpermute_b32 v13, v19, v5
	ds_bpermute_b32 v14, v19, v6
	ds_bpermute_b32 v15, v19, v7
	s_wait_dscnt 0x2
	v_add_f64_e32 v[4:5], v[4:5], v[12:13]
	s_wait_dscnt 0x0
	v_add_f64_e32 v[6:7], v[6:7], v[14:15]
	;; [unrolled: 8-line block ×4, first 2 shown]
	s_or_b32 exec_lo, exec_lo, s4
	s_and_saveexec_b32 s4, vcc_lo
	s_cbranch_execz .LBB43_2
.LBB43_19:                              ;   in Loop: Header=BB43_3 Depth=1
	s_mul_u64 s[28:29], s[22:23], s[24:25]
	s_delay_alu instid0(SALU_CYCLE_1) | instskip(NEXT) | instid1(SALU_CYCLE_1)
	s_lshl_b64 s[28:29], s[28:29], 4
	s_add_nc_u64 s[28:29], s[8:9], s[28:29]
	s_wait_dscnt 0x0
	global_store_b128 v2, v[4:7], s[28:29]
	s_branch .LBB43_2
.LBB43_20:                              ;   in Loop: Header=BB43_3 Depth=1
	s_or_b32 exec_lo, exec_lo, s15
	s_delay_alu instid0(SALU_CYCLE_1)
	s_or_b32 exec_lo, exec_lo, s5
	s_and_saveexec_b32 s4, s0
	s_cbranch_execnz .LBB43_6
	s_branch .LBB43_7
.LBB43_21:
	s_endpgm
	.section	.rodata,"a",@progbits
	.p2align	6, 0x0
	.amdhsa_kernel _ZL20rocblas_trmvt_kernelILi512ELb1ELb0ELb1EPK19rocblas_complex_numIdEPS1_S4_EviT3_lllT4_lllT5_li
		.amdhsa_group_segment_fixed_size 512
		.amdhsa_private_segment_fixed_size 0
		.amdhsa_kernarg_size 92
		.amdhsa_user_sgpr_count 2
		.amdhsa_user_sgpr_dispatch_ptr 0
		.amdhsa_user_sgpr_queue_ptr 0
		.amdhsa_user_sgpr_kernarg_segment_ptr 1
		.amdhsa_user_sgpr_dispatch_id 0
		.amdhsa_user_sgpr_kernarg_preload_length 0
		.amdhsa_user_sgpr_kernarg_preload_offset 0
		.amdhsa_user_sgpr_private_segment_size 0
		.amdhsa_wavefront_size32 1
		.amdhsa_uses_dynamic_stack 0
		.amdhsa_enable_private_segment 0
		.amdhsa_system_sgpr_workgroup_id_x 1
		.amdhsa_system_sgpr_workgroup_id_y 0
		.amdhsa_system_sgpr_workgroup_id_z 1
		.amdhsa_system_sgpr_workgroup_info 0
		.amdhsa_system_vgpr_workitem_id 0
		.amdhsa_next_free_vgpr 32
		.amdhsa_next_free_sgpr 31
		.amdhsa_named_barrier_count 0
		.amdhsa_reserve_vcc 1
		.amdhsa_float_round_mode_32 0
		.amdhsa_float_round_mode_16_64 0
		.amdhsa_float_denorm_mode_32 3
		.amdhsa_float_denorm_mode_16_64 3
		.amdhsa_fp16_overflow 0
		.amdhsa_memory_ordered 1
		.amdhsa_forward_progress 1
		.amdhsa_inst_pref_size 11
		.amdhsa_round_robin_scheduling 0
		.amdhsa_exception_fp_ieee_invalid_op 0
		.amdhsa_exception_fp_denorm_src 0
		.amdhsa_exception_fp_ieee_div_zero 0
		.amdhsa_exception_fp_ieee_overflow 0
		.amdhsa_exception_fp_ieee_underflow 0
		.amdhsa_exception_fp_ieee_inexact 0
		.amdhsa_exception_int_div_zero 0
	.end_amdhsa_kernel
	.section	.text._ZL20rocblas_trmvt_kernelILi512ELb1ELb0ELb1EPK19rocblas_complex_numIdEPS1_S4_EviT3_lllT4_lllT5_li,"axG",@progbits,_ZL20rocblas_trmvt_kernelILi512ELb1ELb0ELb1EPK19rocblas_complex_numIdEPS1_S4_EviT3_lllT4_lllT5_li,comdat
.Lfunc_end43:
	.size	_ZL20rocblas_trmvt_kernelILi512ELb1ELb0ELb1EPK19rocblas_complex_numIdEPS1_S4_EviT3_lllT4_lllT5_li, .Lfunc_end43-_ZL20rocblas_trmvt_kernelILi512ELb1ELb0ELb1EPK19rocblas_complex_numIdEPS1_S4_EviT3_lllT4_lllT5_li
                                        ; -- End function
	.set _ZL20rocblas_trmvt_kernelILi512ELb1ELb0ELb1EPK19rocblas_complex_numIdEPS1_S4_EviT3_lllT4_lllT5_li.num_vgpr, 32
	.set _ZL20rocblas_trmvt_kernelILi512ELb1ELb0ELb1EPK19rocblas_complex_numIdEPS1_S4_EviT3_lllT4_lllT5_li.num_agpr, 0
	.set _ZL20rocblas_trmvt_kernelILi512ELb1ELb0ELb1EPK19rocblas_complex_numIdEPS1_S4_EviT3_lllT4_lllT5_li.numbered_sgpr, 31
	.set _ZL20rocblas_trmvt_kernelILi512ELb1ELb0ELb1EPK19rocblas_complex_numIdEPS1_S4_EviT3_lllT4_lllT5_li.num_named_barrier, 0
	.set _ZL20rocblas_trmvt_kernelILi512ELb1ELb0ELb1EPK19rocblas_complex_numIdEPS1_S4_EviT3_lllT4_lllT5_li.private_seg_size, 0
	.set _ZL20rocblas_trmvt_kernelILi512ELb1ELb0ELb1EPK19rocblas_complex_numIdEPS1_S4_EviT3_lllT4_lllT5_li.uses_vcc, 1
	.set _ZL20rocblas_trmvt_kernelILi512ELb1ELb0ELb1EPK19rocblas_complex_numIdEPS1_S4_EviT3_lllT4_lllT5_li.uses_flat_scratch, 0
	.set _ZL20rocblas_trmvt_kernelILi512ELb1ELb0ELb1EPK19rocblas_complex_numIdEPS1_S4_EviT3_lllT4_lllT5_li.has_dyn_sized_stack, 0
	.set _ZL20rocblas_trmvt_kernelILi512ELb1ELb0ELb1EPK19rocblas_complex_numIdEPS1_S4_EviT3_lllT4_lllT5_li.has_recursion, 0
	.set _ZL20rocblas_trmvt_kernelILi512ELb1ELb0ELb1EPK19rocblas_complex_numIdEPS1_S4_EviT3_lllT4_lllT5_li.has_indirect_call, 0
	.section	.AMDGPU.csdata,"",@progbits
; Kernel info:
; codeLenInByte = 1380
; TotalNumSgprs: 33
; NumVgprs: 32
; ScratchSize: 0
; MemoryBound: 0
; FloatMode: 240
; IeeeMode: 1
; LDSByteSize: 512 bytes/workgroup (compile time only)
; SGPRBlocks: 0
; VGPRBlocks: 1
; NumSGPRsForWavesPerEU: 33
; NumVGPRsForWavesPerEU: 32
; NamedBarCnt: 0
; Occupancy: 16
; WaveLimiterHint : 0
; COMPUTE_PGM_RSRC2:SCRATCH_EN: 0
; COMPUTE_PGM_RSRC2:USER_SGPR: 2
; COMPUTE_PGM_RSRC2:TRAP_HANDLER: 0
; COMPUTE_PGM_RSRC2:TGID_X_EN: 1
; COMPUTE_PGM_RSRC2:TGID_Y_EN: 0
; COMPUTE_PGM_RSRC2:TGID_Z_EN: 1
; COMPUTE_PGM_RSRC2:TIDIG_COMP_CNT: 0
	.section	.text._ZL20rocblas_trmvt_kernelILi512ELb1ELb1ELb1EPK19rocblas_complex_numIdEPS1_S4_EviT3_lllT4_lllT5_li,"axG",@progbits,_ZL20rocblas_trmvt_kernelILi512ELb1ELb1ELb1EPK19rocblas_complex_numIdEPS1_S4_EviT3_lllT4_lllT5_li,comdat
	.globl	_ZL20rocblas_trmvt_kernelILi512ELb1ELb1ELb1EPK19rocblas_complex_numIdEPS1_S4_EviT3_lllT4_lllT5_li ; -- Begin function _ZL20rocblas_trmvt_kernelILi512ELb1ELb1ELb1EPK19rocblas_complex_numIdEPS1_S4_EviT3_lllT4_lllT5_li
	.p2align	8
	.type	_ZL20rocblas_trmvt_kernelILi512ELb1ELb1ELb1EPK19rocblas_complex_numIdEPS1_S4_EviT3_lllT4_lllT5_li,@function
_ZL20rocblas_trmvt_kernelILi512ELb1ELb1ELb1EPK19rocblas_complex_numIdEPS1_S4_EviT3_lllT4_lllT5_li: ; @_ZL20rocblas_trmvt_kernelILi512ELb1ELb1ELb1EPK19rocblas_complex_numIdEPS1_S4_EviT3_lllT4_lllT5_li
; %bb.0:
	s_load_b32 s26, s[0:1], 0x58
	s_bfe_u32 s2, ttmp6, 0x40014
	s_lshr_b32 s4, ttmp7, 16
	s_add_co_i32 s2, s2, 1
	s_bfe_u32 s5, ttmp6, 0x40008
	s_mul_i32 s2, s4, s2
	s_getreg_b32 s3, hwreg(HW_REG_IB_STS2, 6, 4)
	s_add_co_i32 s5, s5, s2
	s_cmp_eq_u32 s3, 0
	s_mov_b32 s25, 0
	s_cselect_b32 s24, s4, s5
	s_wait_kmcnt 0x0
	s_cmp_ge_u32 s24, s26
	s_cbranch_scc1 .LBB44_21
; %bb.1:
	s_clause 0x2
	s_load_b512 s[4:19], s[0:1], 0x8
	s_load_b32 s27, s[0:1], 0x0
	s_load_b128 s[20:23], s[0:1], 0x48
	v_dual_mov_b32 v2, 0 :: v_dual_bitop2_b32 v3, 31, v0 bitop3:0x40
	v_mbcnt_lo_u32_b32 v8, -1, 0
	s_wait_xcnt 0x0
	s_bfe_u32 s1, ttmp6, 0x4000c
	s_delay_alu instid0(VALU_DEP_2)
	v_dual_mov_b32 v1, v2 :: v_dual_lshrrev_b32 v6, 1, v0
	s_add_co_i32 s2, s1, 1
	s_and_b32 s28, ttmp6, 15
	s_mul_i32 s29, ttmp9, s2
	v_cmp_gt_u32_e64 s2, 24, v8
	s_add_co_i32 s30, s28, s29
	v_and_b32_e32 v17, 0xf0, v6
	v_lshl_or_b32 v16, v8, 2, 64
	v_cmp_gt_u32_e64 s0, 32, v0
	v_cndmask_b32_e64 v9, 0, 8, s2
	v_cmp_gt_u32_e64 s2, 28, v8
	v_cmp_gt_u32_e64 s1, 16, v0
	s_wait_kmcnt 0x0
	v_mul_u64_e32 v[4:5], s[16:17], v[0:1]
	s_lshl_b64 s[28:29], s[14:15], 4
	s_cmp_eq_u32 s3, 0
	v_cndmask_b32_e64 v10, 0, 4, s2
	v_cmp_gt_u32_e64 s2, 30, v8
	v_cmp_gt_i32_e64 s3, s27, v0
	s_cselect_b32 s14, ttmp9, s30
	v_dual_lshlrev_b32 v1, 4, v3 :: v_dual_mov_b32 v7, v2
	v_cndmask_b32_e64 v11, 0, 2, s2
	v_cmp_ne_u32_e64 s2, 31, v8
	s_ashr_i32 s15, s14, 31
	s_lshl_b64 s[6:7], s[6:7], 4
	s_mul_u64 s[8:9], s[8:9], s[14:15]
	v_add_lshl_u32 v18, v9, v8, 2
	v_add_co_ci_u32_e64 v12, null, 0, v8, s2
	v_cmp_eq_u32_e64 s2, 0, v3
	v_cndmask_b32_e64 v3, 0, v0, s3
	s_lshl_b64 s[8:9], s[8:9], 4
	v_lshlrev_b32_e32 v21, 2, v12
	s_add_nc_u64 s[6:7], s[8:9], s[6:7]
	v_add_lshl_u32 v19, v10, v8, 2
	v_lshlrev_b32_e32 v6, 4, v3
	s_add_nc_u64 s[4:5], s[4:5], s[6:7]
	s_add_nc_u64 s[6:7], s[12:13], s[28:29]
	v_add_lshl_u32 v20, v11, v8, 2
	s_lshl_b64 s[8:9], s[14:15], 4
	v_add_nc_u64_e32 v[6:7], s[4:5], v[6:7]
	s_mul_u64 s[4:5], s[16:17], s[14:15]
	s_add_nc_u64 s[8:9], s[20:21], s[8:9]
	s_lshl_b64 s[12:13], s[18:19], 4
	v_lshl_add_u64 v[4:5], v[4:5], 4, s[6:7]
	s_lshl_b64 s[16:17], s[16:17], 13
	s_lshl_b64 s[10:11], s[10:11], 4
	v_add_nc_u64_e32 v[10:11], 8, v[6:7]
	s_lshl_b64 s[20:21], s[4:5], 4
	v_add_nc_u64_e32 v[8:9], 8, v[4:5]
	v_cmp_eq_u32_e32 vcc_lo, 0, v0
	s_branch .LBB44_3
.LBB44_2:                               ;   in Loop: Header=BB44_3 Depth=1
	s_wait_xcnt 0x0
	s_or_b32 exec_lo, exec_lo, s4
	s_add_co_i32 s24, s24, 0x10000
	s_delay_alu instid0(SALU_CYCLE_1)
	s_cmp_lt_u32 s24, s26
	s_cbranch_scc0 .LBB44_21
.LBB44_3:                               ; =>This Loop Header: Depth=1
                                        ;     Child Loop BB44_15 Depth 2
	v_mov_b64_e32 v[12:13], 0
	s_wait_dscnt 0x0
	v_mov_b64_e32 v[6:7], 0
	s_and_saveexec_b32 s4, vcc_lo
	s_cbranch_execnz .LBB44_12
; %bb.4:                                ;   in Loop: Header=BB44_3 Depth=1
	s_or_b32 exec_lo, exec_lo, s4
	s_and_saveexec_b32 s5, s3
	s_cbranch_execnz .LBB44_13
.LBB44_5:                               ;   in Loop: Header=BB44_3 Depth=1
	s_or_b32 exec_lo, exec_lo, s5
	s_and_saveexec_b32 s4, s0
.LBB44_6:                               ;   in Loop: Header=BB44_3 Depth=1
	v_dual_mov_b32 v3, v2 :: v_dual_mov_b32 v4, v2
	v_mov_b32_e32 v5, v2
	ds_store_b128 v1, v[2:5]
.LBB44_7:                               ;   in Loop: Header=BB44_3 Depth=1
	s_or_b32 exec_lo, exec_lo, s4
	ds_bpermute_b32 v4, v16, v12
	ds_bpermute_b32 v5, v16, v13
	;; [unrolled: 1-line block ×4, first 2 shown]
	s_wait_dscnt 0x0
	s_barrier_signal -1
	s_barrier_wait -1
	v_add_f64_e32 v[4:5], v[12:13], v[4:5]
	v_add_f64_e32 v[6:7], v[6:7], v[14:15]
	ds_bpermute_b32 v12, v18, v4
	ds_bpermute_b32 v13, v18, v5
	ds_bpermute_b32 v14, v18, v6
	ds_bpermute_b32 v15, v18, v7
	s_wait_dscnt 0x2
	v_add_f64_e32 v[4:5], v[4:5], v[12:13]
	s_wait_dscnt 0x0
	v_add_f64_e32 v[6:7], v[6:7], v[14:15]
	ds_bpermute_b32 v12, v19, v4
	ds_bpermute_b32 v13, v19, v5
	ds_bpermute_b32 v14, v19, v6
	ds_bpermute_b32 v15, v19, v7
	s_wait_dscnt 0x2
	v_add_f64_e32 v[4:5], v[4:5], v[12:13]
	s_wait_dscnt 0x0
	;; [unrolled: 8-line block ×3, first 2 shown]
	v_add_f64_e32 v[12:13], v[6:7], v[14:15]
	ds_bpermute_b32 v6, v21, v4
	ds_bpermute_b32 v7, v21, v5
	;; [unrolled: 1-line block ×4, first 2 shown]
	s_and_saveexec_b32 s4, s2
	s_cbranch_execz .LBB44_9
; %bb.8:                                ;   in Loop: Header=BB44_3 Depth=1
	s_wait_dscnt 0x0
	v_add_f64_e32 v[14:15], v[12:13], v[14:15]
	v_add_f64_e32 v[12:13], v[4:5], v[6:7]
	ds_store_b128 v17, v[12:15]
.LBB44_9:                               ;   in Loop: Header=BB44_3 Depth=1
	s_or_b32 exec_lo, exec_lo, s4
	s_wait_dscnt 0x2
	v_mov_b64_e32 v[6:7], 0
	v_mov_b64_e32 v[4:5], 0
	s_wait_dscnt 0x0
	s_barrier_signal -1
	s_barrier_wait -1
	s_and_saveexec_b32 s4, s1
	s_cbranch_execnz .LBB44_17
; %bb.10:                               ;   in Loop: Header=BB44_3 Depth=1
	s_or_b32 exec_lo, exec_lo, s4
	s_and_saveexec_b32 s4, s0
	s_cbranch_execnz .LBB44_18
.LBB44_11:                              ;   in Loop: Header=BB44_3 Depth=1
	s_or_b32 exec_lo, exec_lo, s4
	s_and_saveexec_b32 s4, vcc_lo
	s_cbranch_execz .LBB44_2
	s_branch .LBB44_19
.LBB44_12:                              ;   in Loop: Header=BB44_3 Depth=1
	s_mul_u64 s[28:29], s[18:19], s[24:25]
	s_delay_alu instid0(SALU_CYCLE_1) | instskip(NEXT) | instid1(SALU_CYCLE_1)
	s_lshl_b64 s[28:29], s[28:29], 4
	s_add_nc_u64 s[28:29], s[6:7], s[28:29]
	s_delay_alu instid0(SALU_CYCLE_1)
	s_add_nc_u64 s[28:29], s[28:29], s[20:21]
	global_load_b128 v[4:7], v2, s[28:29]
	s_wait_loadcnt 0x0
	v_add_f64_e32 v[12:13], 0, v[4:5]
	v_add_f64_e32 v[6:7], 0, v[6:7]
	s_wait_xcnt 0x0
	s_or_b32 exec_lo, exec_lo, s4
	s_and_saveexec_b32 s5, s3
	s_cbranch_execz .LBB44_5
.LBB44_13:                              ;   in Loop: Header=BB44_3 Depth=1
	v_mad_nc_u64_u32 v[4:5], s12, s24, v[8:9]
	v_mad_nc_u64_u32 v[14:15], s10, s24, v[10:11]
	v_mov_b32_e32 v3, v0
	s_mov_b32 s15, 0
	s_delay_alu instid0(VALU_DEP_3) | instskip(NEXT) | instid1(VALU_DEP_3)
	v_mad_u32 v5, s13, s24, v5
	v_mad_u32 v15, s11, s24, v15
	s_branch .LBB44_15
.LBB44_14:                              ;   in Loop: Header=BB44_15 Depth=2
	s_wait_xcnt 0x0
	s_or_b32 exec_lo, exec_lo, s28
	v_add_nc_u32_e32 v3, 0x200, v3
	s_delay_alu instid0(VALU_DEP_4) | instskip(NEXT) | instid1(VALU_DEP_4)
	v_add_nc_u64_e32 v[4:5], s[16:17], v[4:5]
	v_add_nc_u64_e32 v[14:15], 0x2000, v[14:15]
	s_delay_alu instid0(VALU_DEP_3) | instskip(SKIP_1) | instid1(SALU_CYCLE_1)
	v_cmp_le_i32_e64 s4, s27, v3
	s_or_b32 s15, s4, s15
	s_and_not1_b32 exec_lo, exec_lo, s15
	s_cbranch_execz .LBB44_20
.LBB44_15:                              ;   Parent Loop BB44_3 Depth=1
                                        ; =>  This Inner Loop Header: Depth=2
	s_mov_b32 s28, exec_lo
	v_cmpx_lt_i32_e64 s14, v3
	s_cbranch_execz .LBB44_14
; %bb.16:                               ;   in Loop: Header=BB44_15 Depth=2
	global_load_b128 v[22:25], v[14:15], off offset:-8
	global_load_b128 v[26:29], v[4:5], off offset:-8
	s_wait_loadcnt 0x0
	v_mul_f64_e32 v[30:31], v[24:25], v[28:29]
	v_mul_f64_e32 v[24:25], v[24:25], v[26:27]
	s_delay_alu instid0(VALU_DEP_2) | instskip(NEXT) | instid1(VALU_DEP_2)
	v_fmac_f64_e32 v[30:31], v[22:23], v[26:27]
	v_fma_f64 v[22:23], v[22:23], v[28:29], -v[24:25]
	s_delay_alu instid0(VALU_DEP_2) | instskip(NEXT) | instid1(VALU_DEP_2)
	v_add_f64_e32 v[12:13], v[12:13], v[30:31]
	v_add_f64_e32 v[6:7], v[6:7], v[22:23]
	s_branch .LBB44_14
.LBB44_17:                              ;   in Loop: Header=BB44_3 Depth=1
	ds_load_b128 v[4:7], v1
	s_or_b32 exec_lo, exec_lo, s4
	s_and_saveexec_b32 s4, s0
	s_cbranch_execz .LBB44_11
.LBB44_18:                              ;   in Loop: Header=BB44_3 Depth=1
	s_wait_dscnt 0x0
	ds_bpermute_b32 v12, v18, v4
	ds_bpermute_b32 v13, v18, v5
	ds_bpermute_b32 v14, v18, v6
	ds_bpermute_b32 v15, v18, v7
	s_wait_dscnt 0x2
	v_add_f64_e32 v[4:5], v[4:5], v[12:13]
	s_wait_dscnt 0x0
	v_add_f64_e32 v[6:7], v[6:7], v[14:15]
	ds_bpermute_b32 v12, v19, v4
	ds_bpermute_b32 v13, v19, v5
	ds_bpermute_b32 v14, v19, v6
	ds_bpermute_b32 v15, v19, v7
	s_wait_dscnt 0x2
	v_add_f64_e32 v[4:5], v[4:5], v[12:13]
	s_wait_dscnt 0x0
	v_add_f64_e32 v[6:7], v[6:7], v[14:15]
	;; [unrolled: 8-line block ×4, first 2 shown]
	s_or_b32 exec_lo, exec_lo, s4
	s_and_saveexec_b32 s4, vcc_lo
	s_cbranch_execz .LBB44_2
.LBB44_19:                              ;   in Loop: Header=BB44_3 Depth=1
	s_mul_u64 s[28:29], s[22:23], s[24:25]
	s_delay_alu instid0(SALU_CYCLE_1) | instskip(NEXT) | instid1(SALU_CYCLE_1)
	s_lshl_b64 s[28:29], s[28:29], 4
	s_add_nc_u64 s[28:29], s[8:9], s[28:29]
	s_wait_dscnt 0x0
	global_store_b128 v2, v[4:7], s[28:29]
	s_branch .LBB44_2
.LBB44_20:                              ;   in Loop: Header=BB44_3 Depth=1
	s_or_b32 exec_lo, exec_lo, s15
	s_delay_alu instid0(SALU_CYCLE_1)
	s_or_b32 exec_lo, exec_lo, s5
	s_and_saveexec_b32 s4, s0
	s_cbranch_execnz .LBB44_6
	s_branch .LBB44_7
.LBB44_21:
	s_endpgm
	.section	.rodata,"a",@progbits
	.p2align	6, 0x0
	.amdhsa_kernel _ZL20rocblas_trmvt_kernelILi512ELb1ELb1ELb1EPK19rocblas_complex_numIdEPS1_S4_EviT3_lllT4_lllT5_li
		.amdhsa_group_segment_fixed_size 512
		.amdhsa_private_segment_fixed_size 0
		.amdhsa_kernarg_size 92
		.amdhsa_user_sgpr_count 2
		.amdhsa_user_sgpr_dispatch_ptr 0
		.amdhsa_user_sgpr_queue_ptr 0
		.amdhsa_user_sgpr_kernarg_segment_ptr 1
		.amdhsa_user_sgpr_dispatch_id 0
		.amdhsa_user_sgpr_kernarg_preload_length 0
		.amdhsa_user_sgpr_kernarg_preload_offset 0
		.amdhsa_user_sgpr_private_segment_size 0
		.amdhsa_wavefront_size32 1
		.amdhsa_uses_dynamic_stack 0
		.amdhsa_enable_private_segment 0
		.amdhsa_system_sgpr_workgroup_id_x 1
		.amdhsa_system_sgpr_workgroup_id_y 0
		.amdhsa_system_sgpr_workgroup_id_z 1
		.amdhsa_system_sgpr_workgroup_info 0
		.amdhsa_system_vgpr_workitem_id 0
		.amdhsa_next_free_vgpr 32
		.amdhsa_next_free_sgpr 31
		.amdhsa_named_barrier_count 0
		.amdhsa_reserve_vcc 1
		.amdhsa_float_round_mode_32 0
		.amdhsa_float_round_mode_16_64 0
		.amdhsa_float_denorm_mode_32 3
		.amdhsa_float_denorm_mode_16_64 3
		.amdhsa_fp16_overflow 0
		.amdhsa_memory_ordered 1
		.amdhsa_forward_progress 1
		.amdhsa_inst_pref_size 11
		.amdhsa_round_robin_scheduling 0
		.amdhsa_exception_fp_ieee_invalid_op 0
		.amdhsa_exception_fp_denorm_src 0
		.amdhsa_exception_fp_ieee_div_zero 0
		.amdhsa_exception_fp_ieee_overflow 0
		.amdhsa_exception_fp_ieee_underflow 0
		.amdhsa_exception_fp_ieee_inexact 0
		.amdhsa_exception_int_div_zero 0
	.end_amdhsa_kernel
	.section	.text._ZL20rocblas_trmvt_kernelILi512ELb1ELb1ELb1EPK19rocblas_complex_numIdEPS1_S4_EviT3_lllT4_lllT5_li,"axG",@progbits,_ZL20rocblas_trmvt_kernelILi512ELb1ELb1ELb1EPK19rocblas_complex_numIdEPS1_S4_EviT3_lllT4_lllT5_li,comdat
.Lfunc_end44:
	.size	_ZL20rocblas_trmvt_kernelILi512ELb1ELb1ELb1EPK19rocblas_complex_numIdEPS1_S4_EviT3_lllT4_lllT5_li, .Lfunc_end44-_ZL20rocblas_trmvt_kernelILi512ELb1ELb1ELb1EPK19rocblas_complex_numIdEPS1_S4_EviT3_lllT4_lllT5_li
                                        ; -- End function
	.set _ZL20rocblas_trmvt_kernelILi512ELb1ELb1ELb1EPK19rocblas_complex_numIdEPS1_S4_EviT3_lllT4_lllT5_li.num_vgpr, 32
	.set _ZL20rocblas_trmvt_kernelILi512ELb1ELb1ELb1EPK19rocblas_complex_numIdEPS1_S4_EviT3_lllT4_lllT5_li.num_agpr, 0
	.set _ZL20rocblas_trmvt_kernelILi512ELb1ELb1ELb1EPK19rocblas_complex_numIdEPS1_S4_EviT3_lllT4_lllT5_li.numbered_sgpr, 31
	.set _ZL20rocblas_trmvt_kernelILi512ELb1ELb1ELb1EPK19rocblas_complex_numIdEPS1_S4_EviT3_lllT4_lllT5_li.num_named_barrier, 0
	.set _ZL20rocblas_trmvt_kernelILi512ELb1ELb1ELb1EPK19rocblas_complex_numIdEPS1_S4_EviT3_lllT4_lllT5_li.private_seg_size, 0
	.set _ZL20rocblas_trmvt_kernelILi512ELb1ELb1ELb1EPK19rocblas_complex_numIdEPS1_S4_EviT3_lllT4_lllT5_li.uses_vcc, 1
	.set _ZL20rocblas_trmvt_kernelILi512ELb1ELb1ELb1EPK19rocblas_complex_numIdEPS1_S4_EviT3_lllT4_lllT5_li.uses_flat_scratch, 0
	.set _ZL20rocblas_trmvt_kernelILi512ELb1ELb1ELb1EPK19rocblas_complex_numIdEPS1_S4_EviT3_lllT4_lllT5_li.has_dyn_sized_stack, 0
	.set _ZL20rocblas_trmvt_kernelILi512ELb1ELb1ELb1EPK19rocblas_complex_numIdEPS1_S4_EviT3_lllT4_lllT5_li.has_recursion, 0
	.set _ZL20rocblas_trmvt_kernelILi512ELb1ELb1ELb1EPK19rocblas_complex_numIdEPS1_S4_EviT3_lllT4_lllT5_li.has_indirect_call, 0
	.section	.AMDGPU.csdata,"",@progbits
; Kernel info:
; codeLenInByte = 1380
; TotalNumSgprs: 33
; NumVgprs: 32
; ScratchSize: 0
; MemoryBound: 0
; FloatMode: 240
; IeeeMode: 1
; LDSByteSize: 512 bytes/workgroup (compile time only)
; SGPRBlocks: 0
; VGPRBlocks: 1
; NumSGPRsForWavesPerEU: 33
; NumVGPRsForWavesPerEU: 32
; NamedBarCnt: 0
; Occupancy: 16
; WaveLimiterHint : 0
; COMPUTE_PGM_RSRC2:SCRATCH_EN: 0
; COMPUTE_PGM_RSRC2:USER_SGPR: 2
; COMPUTE_PGM_RSRC2:TRAP_HANDLER: 0
; COMPUTE_PGM_RSRC2:TGID_X_EN: 1
; COMPUTE_PGM_RSRC2:TGID_Y_EN: 0
; COMPUTE_PGM_RSRC2:TGID_Z_EN: 1
; COMPUTE_PGM_RSRC2:TIDIG_COMP_CNT: 0
	.section	.text._ZL20rocblas_trmvn_kernelILi64ELi16ELb1ELb0EPK19rocblas_complex_numIdEPS1_S4_EviT3_lllT4_lllT5_li,"axG",@progbits,_ZL20rocblas_trmvn_kernelILi64ELi16ELb1ELb0EPK19rocblas_complex_numIdEPS1_S4_EviT3_lllT4_lllT5_li,comdat
	.globl	_ZL20rocblas_trmvn_kernelILi64ELi16ELb1ELb0EPK19rocblas_complex_numIdEPS1_S4_EviT3_lllT4_lllT5_li ; -- Begin function _ZL20rocblas_trmvn_kernelILi64ELi16ELb1ELb0EPK19rocblas_complex_numIdEPS1_S4_EviT3_lllT4_lllT5_li
	.p2align	8
	.type	_ZL20rocblas_trmvn_kernelILi64ELi16ELb1ELb0EPK19rocblas_complex_numIdEPS1_S4_EviT3_lllT4_lllT5_li,@function
_ZL20rocblas_trmvn_kernelILi64ELi16ELb1ELb0EPK19rocblas_complex_numIdEPS1_S4_EviT3_lllT4_lllT5_li: ; @_ZL20rocblas_trmvn_kernelILi64ELi16ELb1ELb0EPK19rocblas_complex_numIdEPS1_S4_EviT3_lllT4_lllT5_li
; %bb.0:
	s_load_b32 s3, s[0:1], 0x58
	s_bfe_u32 s2, ttmp6, 0x40014
	s_lshr_b32 s4, ttmp7, 16
	s_add_co_i32 s2, s2, 1
	s_bfe_u32 s6, ttmp6, 0x40008
	s_mul_i32 s5, s4, s2
	s_getreg_b32 s2, hwreg(HW_REG_IB_STS2, 6, 4)
	s_add_co_i32 s6, s6, s5
	s_cmp_eq_u32 s2, 0
	s_mov_b32 s25, 0
	s_cselect_b32 s24, s4, s6
	s_wait_kmcnt 0x0
	s_cmp_ge_u32 s24, s3
	s_cbranch_scc1 .LBB45_14
; %bb.1:
	s_clause 0x1
	s_load_b512 s[4:19], s[0:1], 0x8
	s_load_b32 s20, s[0:1], 0x6c
	s_bfe_u32 s21, ttmp6, 0x4000c
	s_and_b32 s22, ttmp6, 15
	s_add_co_i32 s21, s21, 1
	v_and_b32_e32 v14, 0x3ff, v0
	s_mul_i32 s21, ttmp9, s21
	v_bfe_u32 v4, v0, 10, 10
	s_add_co_i32 s22, s22, s21
	s_load_b32 s26, s[0:1], 0x0
	s_delay_alu instid0(VALU_DEP_1)
	v_dual_lshlrev_b32 v18, 4, v14 :: v_dual_lshlrev_b32 v19, 10, v4
	s_wait_kmcnt 0x0
	s_lshl_b64 s[6:7], s[6:7], 4
	s_lshl_b64 s[14:15], s[14:15], 4
	s_and_b32 s27, s20, 0xffff
	s_cmp_eq_u32 s2, 0
	s_add_nc_u64 s[12:13], s[12:13], s[14:15]
	s_cselect_b32 s2, ttmp9, s22
	s_load_b128 s[20:23], s[0:1], 0x48
	v_lshl_add_u32 v6, s2, 6, v14
	v_mov_b32_e32 v5, 0
	v_mad_u32_u24 v15, v4, s27, v14
	s_wait_xcnt 0x0
	v_cmp_eq_u32_e64 s0, 0, v4
	s_lshl_b64 s[14:15], s[16:17], 8
	v_ashrrev_i32_e32 v7, 31, v6
	v_mul_u64_e32 v[2:3], s[8:9], v[4:5]
	v_mul_u64_e32 v[0:1], s[16:17], v[4:5]
	v_cmp_gt_i32_e32 vcc_lo, s26, v6
	v_cmp_gt_u32_e64 s1, 64, v15
	v_mad_nc_u64_u32 v[8:9], v6, s8, v[6:7]
	v_mul_u64_e32 v[10:11], s[16:17], v[6:7]
	v_lshlrev_b64_e32 v[12:13], 4, v[6:7]
	s_lshl_b64 s[16:17], s[10:11], 4
	s_delay_alu instid0(VALU_DEP_3) | instskip(SKIP_3) | instid1(VALU_DEP_3)
	v_mad_u32 v5, v7, s8, v9
	v_mul_u32_u24_e32 v7, s27, v4
	s_and_b32 s27, s0, vcc_lo
	v_cmp_gt_i32_e64 s0, s26, v4
	v_mad_u32 v9, v6, s9, v5
	s_delay_alu instid0(VALU_DEP_3)
	v_lshl_add_u32 v5, v7, 4, v18
	v_add_nc_u32_e32 v7, v18, v19
	s_lshl_b64 s[8:9], s[8:9], 8
	v_lshl_add_u64 v[2:3], v[2:3], 4, s[6:7]
	v_lshl_add_u64 v[0:1], v[0:1], 4, s[12:13]
	s_add_nc_u64 s[6:7], s[4:5], s[6:7]
	s_delay_alu instid0(VALU_DEP_2) | instskip(SKIP_3) | instid1(VALU_DEP_3)
	v_add_nc_u64_e32 v[2:3], v[2:3], v[12:13]
	s_wait_kmcnt 0x0
	v_add_nc_u64_e32 v[12:13], s[20:21], v[12:13]
	v_add_nc_u64_e32 v[14:15], 8, v[0:1]
	;; [unrolled: 1-line block ×3, first 2 shown]
	s_lshl_b64 s[4:5], s[18:19], 4
	s_delay_alu instid0(VALU_DEP_1)
	v_add_nc_u64_e32 v[16:17], 8, v[2:3]
	s_branch .LBB45_3
.LBB45_2:                               ;   in Loop: Header=BB45_3 Depth=1
	s_wait_xcnt 0x0
	s_or_b32 exec_lo, exec_lo, s2
	s_add_co_i32 s24, s24, 0x10000
	s_delay_alu instid0(SALU_CYCLE_1)
	s_cmp_lt_u32 s24, s3
	s_cbranch_scc0 .LBB45_14
.LBB45_3:                               ; =>This Loop Header: Depth=1
                                        ;     Child Loop BB45_8 Depth 2
	v_mov_b64_e32 v[0:1], 0
	v_mov_b64_e32 v[2:3], 0
	s_and_saveexec_b32 s2, s27
	s_cbranch_execz .LBB45_5
; %bb.4:                                ;   in Loop: Header=BB45_3 Depth=1
	s_mul_u64 s[20:21], s[18:19], s[24:25]
	s_mul_u64 s[28:29], s[10:11], s[24:25]
	s_lshl_b64 s[20:21], s[20:21], 4
	s_lshl_b64 s[28:29], s[28:29], 4
	s_add_nc_u64 s[20:21], s[12:13], s[20:21]
	s_add_nc_u64 s[28:29], s[6:7], s[28:29]
	v_lshl_add_u64 v[0:1], v[10:11], 4, s[20:21]
	v_lshl_add_u64 v[2:3], v[8:9], 4, s[28:29]
	global_load_b128 v[18:21], v[0:1], off
	global_load_b128 v[22:25], v[2:3], off
	s_wait_loadcnt 0x0
	s_wait_xcnt 0x1
	v_mul_f64_e32 v[0:1], v[20:21], v[24:25]
	s_wait_xcnt 0x0
	v_mul_f64_e32 v[2:3], v[18:19], v[24:25]
	s_delay_alu instid0(VALU_DEP_2) | instskip(NEXT) | instid1(VALU_DEP_2)
	v_fma_f64 v[0:1], v[18:19], v[22:23], -v[0:1]
	v_fmac_f64_e32 v[2:3], v[20:21], v[22:23]
.LBB45_5:                               ;   in Loop: Header=BB45_3 Depth=1
	s_or_b32 exec_lo, exec_lo, s2
	s_and_saveexec_b32 s20, s0
	s_cbranch_execz .LBB45_11
; %bb.6:                                ;   in Loop: Header=BB45_3 Depth=1
	v_mad_nc_u64_u32 v[18:19], s4, s24, v[14:15]
	v_mad_nc_u64_u32 v[20:21], s16, s24, v[16:17]
	v_mov_b32_e32 v22, v4
	s_mov_b32 s21, 0
	s_delay_alu instid0(VALU_DEP_3) | instskip(NEXT) | instid1(VALU_DEP_3)
	v_mad_u32 v19, s5, s24, v19
	v_mad_u32 v21, s17, s24, v21
	s_branch .LBB45_8
.LBB45_7:                               ;   in Loop: Header=BB45_8 Depth=2
	s_wait_xcnt 0x0
	s_or_b32 exec_lo, exec_lo, s2
	v_add_nc_u32_e32 v22, 16, v22
	v_add_nc_u64_e32 v[18:19], s[14:15], v[18:19]
	v_add_nc_u64_e32 v[20:21], s[8:9], v[20:21]
	s_delay_alu instid0(VALU_DEP_3) | instskip(SKIP_1) | instid1(SALU_CYCLE_1)
	v_cmp_le_i32_e64 s2, s26, v22
	s_or_b32 s21, s2, s21
	s_and_not1_b32 exec_lo, exec_lo, s21
	s_cbranch_execz .LBB45_10
.LBB45_8:                               ;   Parent Loop BB45_3 Depth=1
                                        ; =>  This Inner Loop Header: Depth=2
	v_cmp_lt_i32_e64 s2, v22, v6
	s_and_b32 s28, vcc_lo, s2
	s_delay_alu instid0(SALU_CYCLE_1)
	s_and_saveexec_b32 s2, s28
	s_cbranch_execz .LBB45_7
; %bb.9:                                ;   in Loop: Header=BB45_8 Depth=2
	global_load_b128 v[24:27], v[18:19], off offset:-8
	global_load_b128 v[28:31], v[20:21], off offset:-8
	s_wait_loadcnt 0x0
	v_mul_f64_e32 v[32:33], v[26:27], v[30:31]
	v_mul_f64_e32 v[30:31], v[24:25], v[30:31]
	s_delay_alu instid0(VALU_DEP_2) | instskip(NEXT) | instid1(VALU_DEP_2)
	v_fma_f64 v[24:25], v[24:25], v[28:29], -v[32:33]
	v_fmac_f64_e32 v[30:31], v[26:27], v[28:29]
	s_delay_alu instid0(VALU_DEP_2) | instskip(NEXT) | instid1(VALU_DEP_2)
	v_add_f64_e32 v[0:1], v[0:1], v[24:25]
	v_add_f64_e32 v[2:3], v[2:3], v[30:31]
	s_branch .LBB45_7
.LBB45_10:                              ;   in Loop: Header=BB45_3 Depth=1
	s_or_b32 exec_lo, exec_lo, s21
.LBB45_11:                              ;   in Loop: Header=BB45_3 Depth=1
	s_delay_alu instid0(SALU_CYCLE_1)
	s_or_b32 exec_lo, exec_lo, s20
	ds_store_b128 v7, v[0:3]
	s_wait_dscnt 0x0
	s_barrier_signal -1
	s_barrier_wait -1
	s_and_saveexec_b32 s2, s1
	s_cbranch_execz .LBB45_2
; %bb.12:                               ;   in Loop: Header=BB45_3 Depth=1
	ds_load_b128 v[0:3], v5
	ds_load_b128 v[18:21], v5 offset:1024
	s_wait_dscnt 0x0
	v_add_f64_e32 v[22:23], v[0:1], v[18:19]
	v_add_f64_e32 v[24:25], v[2:3], v[20:21]
	ds_load_b128 v[0:3], v5 offset:2048
	ds_load_b128 v[18:21], v5 offset:3072
	s_wait_dscnt 0x1
	v_add_f64_e32 v[0:1], v[22:23], v[0:1]
	v_add_f64_e32 v[2:3], v[24:25], v[2:3]
	s_wait_dscnt 0x0
	s_delay_alu instid0(VALU_DEP_2) | instskip(NEXT) | instid1(VALU_DEP_2)
	v_add_f64_e32 v[22:23], v[0:1], v[18:19]
	v_add_f64_e32 v[24:25], v[2:3], v[20:21]
	ds_load_b128 v[0:3], v5 offset:4096
	ds_load_b128 v[18:21], v5 offset:5120
	s_wait_dscnt 0x1
	v_add_f64_e32 v[0:1], v[22:23], v[0:1]
	v_add_f64_e32 v[2:3], v[24:25], v[2:3]
	s_wait_dscnt 0x0
	s_delay_alu instid0(VALU_DEP_2) | instskip(NEXT) | instid1(VALU_DEP_2)
	;; [unrolled: 9-line block ×7, first 2 shown]
	v_add_f64_e32 v[0:1], v[0:1], v[18:19]
	v_add_f64_e32 v[2:3], v[2:3], v[20:21]
	ds_store_b128 v5, v[0:3]
	s_and_b32 exec_lo, exec_lo, vcc_lo
	s_cbranch_execz .LBB45_2
; %bb.13:                               ;   in Loop: Header=BB45_3 Depth=1
	ds_load_2addr_b64 v[0:3], v5 offset1:1
	s_mul_u64 s[20:21], s[22:23], s[24:25]
	s_delay_alu instid0(SALU_CYCLE_1)
	v_lshl_add_u64 v[18:19], s[20:21], 4, v[12:13]
	s_wait_dscnt 0x0
	global_store_b128 v[18:19], v[0:3], off
	s_branch .LBB45_2
.LBB45_14:
	s_endpgm
	.section	.rodata,"a",@progbits
	.p2align	6, 0x0
	.amdhsa_kernel _ZL20rocblas_trmvn_kernelILi64ELi16ELb1ELb0EPK19rocblas_complex_numIdEPS1_S4_EviT3_lllT4_lllT5_li
		.amdhsa_group_segment_fixed_size 16384
		.amdhsa_private_segment_fixed_size 0
		.amdhsa_kernarg_size 352
		.amdhsa_user_sgpr_count 2
		.amdhsa_user_sgpr_dispatch_ptr 0
		.amdhsa_user_sgpr_queue_ptr 0
		.amdhsa_user_sgpr_kernarg_segment_ptr 1
		.amdhsa_user_sgpr_dispatch_id 0
		.amdhsa_user_sgpr_kernarg_preload_length 0
		.amdhsa_user_sgpr_kernarg_preload_offset 0
		.amdhsa_user_sgpr_private_segment_size 0
		.amdhsa_wavefront_size32 1
		.amdhsa_uses_dynamic_stack 0
		.amdhsa_enable_private_segment 0
		.amdhsa_system_sgpr_workgroup_id_x 1
		.amdhsa_system_sgpr_workgroup_id_y 0
		.amdhsa_system_sgpr_workgroup_id_z 1
		.amdhsa_system_sgpr_workgroup_info 0
		.amdhsa_system_vgpr_workitem_id 1
		.amdhsa_next_free_vgpr 34
		.amdhsa_next_free_sgpr 30
		.amdhsa_named_barrier_count 0
		.amdhsa_reserve_vcc 1
		.amdhsa_float_round_mode_32 0
		.amdhsa_float_round_mode_16_64 0
		.amdhsa_float_denorm_mode_32 3
		.amdhsa_float_denorm_mode_16_64 3
		.amdhsa_fp16_overflow 0
		.amdhsa_memory_ordered 1
		.amdhsa_forward_progress 1
		.amdhsa_inst_pref_size 10
		.amdhsa_round_robin_scheduling 0
		.amdhsa_exception_fp_ieee_invalid_op 0
		.amdhsa_exception_fp_denorm_src 0
		.amdhsa_exception_fp_ieee_div_zero 0
		.amdhsa_exception_fp_ieee_overflow 0
		.amdhsa_exception_fp_ieee_underflow 0
		.amdhsa_exception_fp_ieee_inexact 0
		.amdhsa_exception_int_div_zero 0
	.end_amdhsa_kernel
	.section	.text._ZL20rocblas_trmvn_kernelILi64ELi16ELb1ELb0EPK19rocblas_complex_numIdEPS1_S4_EviT3_lllT4_lllT5_li,"axG",@progbits,_ZL20rocblas_trmvn_kernelILi64ELi16ELb1ELb0EPK19rocblas_complex_numIdEPS1_S4_EviT3_lllT4_lllT5_li,comdat
.Lfunc_end45:
	.size	_ZL20rocblas_trmvn_kernelILi64ELi16ELb1ELb0EPK19rocblas_complex_numIdEPS1_S4_EviT3_lllT4_lllT5_li, .Lfunc_end45-_ZL20rocblas_trmvn_kernelILi64ELi16ELb1ELb0EPK19rocblas_complex_numIdEPS1_S4_EviT3_lllT4_lllT5_li
                                        ; -- End function
	.set _ZL20rocblas_trmvn_kernelILi64ELi16ELb1ELb0EPK19rocblas_complex_numIdEPS1_S4_EviT3_lllT4_lllT5_li.num_vgpr, 34
	.set _ZL20rocblas_trmvn_kernelILi64ELi16ELb1ELb0EPK19rocblas_complex_numIdEPS1_S4_EviT3_lllT4_lllT5_li.num_agpr, 0
	.set _ZL20rocblas_trmvn_kernelILi64ELi16ELb1ELb0EPK19rocblas_complex_numIdEPS1_S4_EviT3_lllT4_lllT5_li.numbered_sgpr, 30
	.set _ZL20rocblas_trmvn_kernelILi64ELi16ELb1ELb0EPK19rocblas_complex_numIdEPS1_S4_EviT3_lllT4_lllT5_li.num_named_barrier, 0
	.set _ZL20rocblas_trmvn_kernelILi64ELi16ELb1ELb0EPK19rocblas_complex_numIdEPS1_S4_EviT3_lllT4_lllT5_li.private_seg_size, 0
	.set _ZL20rocblas_trmvn_kernelILi64ELi16ELb1ELb0EPK19rocblas_complex_numIdEPS1_S4_EviT3_lllT4_lllT5_li.uses_vcc, 1
	.set _ZL20rocblas_trmvn_kernelILi64ELi16ELb1ELb0EPK19rocblas_complex_numIdEPS1_S4_EviT3_lllT4_lllT5_li.uses_flat_scratch, 0
	.set _ZL20rocblas_trmvn_kernelILi64ELi16ELb1ELb0EPK19rocblas_complex_numIdEPS1_S4_EviT3_lllT4_lllT5_li.has_dyn_sized_stack, 0
	.set _ZL20rocblas_trmvn_kernelILi64ELi16ELb1ELb0EPK19rocblas_complex_numIdEPS1_S4_EviT3_lllT4_lllT5_li.has_recursion, 0
	.set _ZL20rocblas_trmvn_kernelILi64ELi16ELb1ELb0EPK19rocblas_complex_numIdEPS1_S4_EviT3_lllT4_lllT5_li.has_indirect_call, 0
	.section	.AMDGPU.csdata,"",@progbits
; Kernel info:
; codeLenInByte = 1168
; TotalNumSgprs: 32
; NumVgprs: 34
; ScratchSize: 0
; MemoryBound: 0
; FloatMode: 240
; IeeeMode: 1
; LDSByteSize: 16384 bytes/workgroup (compile time only)
; SGPRBlocks: 0
; VGPRBlocks: 2
; NumSGPRsForWavesPerEU: 32
; NumVGPRsForWavesPerEU: 34
; NamedBarCnt: 0
; Occupancy: 16
; WaveLimiterHint : 0
; COMPUTE_PGM_RSRC2:SCRATCH_EN: 0
; COMPUTE_PGM_RSRC2:USER_SGPR: 2
; COMPUTE_PGM_RSRC2:TRAP_HANDLER: 0
; COMPUTE_PGM_RSRC2:TGID_X_EN: 1
; COMPUTE_PGM_RSRC2:TGID_Y_EN: 0
; COMPUTE_PGM_RSRC2:TGID_Z_EN: 1
; COMPUTE_PGM_RSRC2:TIDIG_COMP_CNT: 1
	.section	.text._ZL20rocblas_trmvt_kernelILi512ELb1ELb0ELb0EPK19rocblas_complex_numIdEPS1_S4_EviT3_lllT4_lllT5_li,"axG",@progbits,_ZL20rocblas_trmvt_kernelILi512ELb1ELb0ELb0EPK19rocblas_complex_numIdEPS1_S4_EviT3_lllT4_lllT5_li,comdat
	.globl	_ZL20rocblas_trmvt_kernelILi512ELb1ELb0ELb0EPK19rocblas_complex_numIdEPS1_S4_EviT3_lllT4_lllT5_li ; -- Begin function _ZL20rocblas_trmvt_kernelILi512ELb1ELb0ELb0EPK19rocblas_complex_numIdEPS1_S4_EviT3_lllT4_lllT5_li
	.p2align	8
	.type	_ZL20rocblas_trmvt_kernelILi512ELb1ELb0ELb0EPK19rocblas_complex_numIdEPS1_S4_EviT3_lllT4_lllT5_li,@function
_ZL20rocblas_trmvt_kernelILi512ELb1ELb0ELb0EPK19rocblas_complex_numIdEPS1_S4_EviT3_lllT4_lllT5_li: ; @_ZL20rocblas_trmvt_kernelILi512ELb1ELb0ELb0EPK19rocblas_complex_numIdEPS1_S4_EviT3_lllT4_lllT5_li
; %bb.0:
	s_load_b32 s28, s[0:1], 0x58
	s_bfe_u32 s2, ttmp6, 0x40014
	s_lshr_b32 s3, ttmp7, 16
	s_add_co_i32 s2, s2, 1
	s_bfe_u32 s4, ttmp6, 0x40008
	s_mul_i32 s2, s3, s2
	s_getreg_b32 s26, hwreg(HW_REG_IB_STS2, 6, 4)
	s_add_co_i32 s4, s4, s2
	s_cmp_eq_u32 s26, 0
	s_mov_b32 s25, 0
	s_cselect_b32 s24, s3, s4
	s_wait_kmcnt 0x0
	s_cmp_ge_u32 s24, s28
	s_cbranch_scc1 .LBB46_21
; %bb.1:
	s_clause 0x2
	s_load_b512 s[4:19], s[0:1], 0x8
	s_load_b32 s29, s[0:1], 0x0
	s_load_b128 s[20:23], s[0:1], 0x48
	v_dual_mov_b32 v2, 0 :: v_dual_bitop2_b32 v3, 31, v0 bitop3:0x40
	v_mbcnt_lo_u32_b32 v8, -1, 0
	v_lshrrev_b32_e32 v4, 1, v0
	s_bfe_u32 s2, ttmp6, 0x4000c
	s_delay_alu instid0(VALU_DEP_3)
	v_mov_b32_e32 v1, v2
	s_add_co_i32 s2, s2, 1
	s_and_b32 s3, ttmp6, 15
	s_mul_i32 s27, ttmp9, s2
	v_cmp_gt_u32_e64 s2, 24, v8
	s_add_co_i32 s27, s3, s27
	v_dual_mov_b32 v5, v2 :: v_dual_lshlrev_b32 v18, 4, v3
	v_lshl_or_b32 v19, v8, 2, 64
	v_cndmask_b32_e64 v9, 0, 8, s2
	v_cmp_gt_u32_e64 s2, 28, v8
	s_wait_xcnt 0x0
	v_cmp_gt_u32_e64 s0, 32, v0
	s_wait_kmcnt 0x0
	v_mul_u64_e32 v[6:7], s[16:17], v[0:1]
	s_lshl_b64 s[14:15], s[14:15], 4
	s_lshl_b64 s[30:31], s[6:7], 4
	v_cndmask_b32_e64 v10, 0, 4, s2
	v_cmp_gt_u32_e64 s2, 30, v8
	v_cmp_gt_i32_e64 s3, s29, v0
	s_cmp_eq_u32 s26, 0
	v_and_b32_e32 v1, 0xf0, v4
	s_cselect_b32 s6, ttmp9, s27
	v_cndmask_b32_e64 v11, 0, 2, s2
	v_cmp_ne_u32_e64 s2, 31, v8
	s_ashr_i32 s7, s6, 31
	v_add_lshl_u32 v20, v9, v8, 2
	s_mul_u64 s[8:9], s[8:9], s[6:7]
	v_add_lshl_u32 v21, v10, v8, 2
	v_add_co_ci_u32_e64 v12, null, 0, v8, s2
	v_cmp_eq_u32_e64 s2, 0, v3
	v_cndmask_b32_e64 v3, 0, v0, s3
	s_lshl_b64 s[26:27], s[8:9], 4
	s_add_nc_u64 s[8:9], s[4:5], s[30:31]
	s_add_nc_u64 s[30:31], s[26:27], s[30:31]
	v_add_lshl_u32 v22, v11, v8, 2
	v_dual_lshlrev_b32 v4, 4, v3 :: v_dual_lshlrev_b32 v23, 2, v12
	s_add_nc_u64 s[4:5], s[4:5], s[30:31]
	v_cmp_gt_u32_e64 s1, 16, v0
	v_cmp_eq_u32_e32 vcc_lo, 0, v0
	s_delay_alu instid0(VALU_DEP_3)
	v_add_nc_u64_e32 v[8:9], s[8:9], v[4:5]
	s_add_nc_u64 s[8:9], s[12:13], s[14:15]
	v_add_nc_u64_e32 v[4:5], s[4:5], v[4:5]
	s_mul_u64 s[4:5], s[16:17], s[6:7]
	v_lshl_add_u64 v[6:7], v[6:7], 4, s[8:9]
	s_lshl_b64 s[12:13], s[6:7], 4
	s_lshl_b64 s[14:15], s[18:19], 4
	v_add_nc_u64_e32 v[8:9], s[26:27], v[8:9]
	s_add_nc_u64 s[12:13], s[20:21], s[12:13]
	v_add_nc_u64_e32 v[10:11], 8, v[6:7]
	v_add_nc_u64_e32 v[12:13], 8, v[4:5]
	s_lshl_b64 s[16:17], s[16:17], 13
	s_lshl_b64 s[20:21], s[10:11], 4
	;; [unrolled: 1-line block ×3, first 2 shown]
	s_branch .LBB46_3
.LBB46_2:                               ;   in Loop: Header=BB46_3 Depth=1
	s_wait_xcnt 0x0
	s_or_b32 exec_lo, exec_lo, s4
	s_add_co_i32 s24, s24, 0x10000
	s_delay_alu instid0(SALU_CYCLE_1)
	s_cmp_lt_u32 s24, s28
	s_cbranch_scc0 .LBB46_21
.LBB46_3:                               ; =>This Loop Header: Depth=1
                                        ;     Child Loop BB46_15 Depth 2
	v_mov_b64_e32 v[14:15], 0
	s_wait_dscnt 0x0
	v_mov_b64_e32 v[6:7], 0
	s_and_saveexec_b32 s4, vcc_lo
	s_cbranch_execnz .LBB46_12
; %bb.4:                                ;   in Loop: Header=BB46_3 Depth=1
	s_or_b32 exec_lo, exec_lo, s4
	s_and_saveexec_b32 s5, s3
	s_cbranch_execnz .LBB46_13
.LBB46_5:                               ;   in Loop: Header=BB46_3 Depth=1
	s_or_b32 exec_lo, exec_lo, s5
	s_and_saveexec_b32 s4, s0
.LBB46_6:                               ;   in Loop: Header=BB46_3 Depth=1
	v_dual_mov_b32 v3, v2 :: v_dual_mov_b32 v4, v2
	v_mov_b32_e32 v5, v2
	ds_store_b128 v18, v[2:5]
.LBB46_7:                               ;   in Loop: Header=BB46_3 Depth=1
	s_or_b32 exec_lo, exec_lo, s4
	ds_bpermute_b32 v4, v19, v14
	ds_bpermute_b32 v5, v19, v15
	;; [unrolled: 1-line block ×4, first 2 shown]
	s_wait_dscnt 0x0
	s_barrier_signal -1
	s_barrier_wait -1
	v_add_f64_e32 v[4:5], v[14:15], v[4:5]
	v_add_f64_e32 v[6:7], v[6:7], v[16:17]
	ds_bpermute_b32 v14, v20, v4
	ds_bpermute_b32 v15, v20, v5
	ds_bpermute_b32 v16, v20, v6
	ds_bpermute_b32 v17, v20, v7
	s_wait_dscnt 0x2
	v_add_f64_e32 v[4:5], v[4:5], v[14:15]
	s_wait_dscnt 0x0
	v_add_f64_e32 v[6:7], v[6:7], v[16:17]
	ds_bpermute_b32 v14, v21, v4
	ds_bpermute_b32 v15, v21, v5
	ds_bpermute_b32 v16, v21, v6
	ds_bpermute_b32 v17, v21, v7
	s_wait_dscnt 0x2
	v_add_f64_e32 v[4:5], v[4:5], v[14:15]
	s_wait_dscnt 0x0
	;; [unrolled: 8-line block ×3, first 2 shown]
	v_add_f64_e32 v[14:15], v[6:7], v[16:17]
	ds_bpermute_b32 v6, v23, v4
	ds_bpermute_b32 v7, v23, v5
	;; [unrolled: 1-line block ×4, first 2 shown]
	s_and_saveexec_b32 s4, s2
	s_cbranch_execz .LBB46_9
; %bb.8:                                ;   in Loop: Header=BB46_3 Depth=1
	s_wait_dscnt 0x0
	v_add_f64_e32 v[16:17], v[14:15], v[16:17]
	v_add_f64_e32 v[14:15], v[4:5], v[6:7]
	ds_store_b128 v1, v[14:17]
.LBB46_9:                               ;   in Loop: Header=BB46_3 Depth=1
	s_or_b32 exec_lo, exec_lo, s4
	s_wait_dscnt 0x2
	v_mov_b64_e32 v[6:7], 0
	v_mov_b64_e32 v[4:5], 0
	s_wait_dscnt 0x0
	s_barrier_signal -1
	s_barrier_wait -1
	s_and_saveexec_b32 s4, s1
	s_cbranch_execnz .LBB46_17
; %bb.10:                               ;   in Loop: Header=BB46_3 Depth=1
	s_or_b32 exec_lo, exec_lo, s4
	s_and_saveexec_b32 s4, s0
	s_cbranch_execnz .LBB46_18
.LBB46_11:                              ;   in Loop: Header=BB46_3 Depth=1
	s_or_b32 exec_lo, exec_lo, s4
	s_and_saveexec_b32 s4, vcc_lo
	s_cbranch_execz .LBB46_2
	s_branch .LBB46_19
.LBB46_12:                              ;   in Loop: Header=BB46_3 Depth=1
	s_mul_u64 s[30:31], s[10:11], s[24:25]
	s_mul_u64 s[34:35], s[18:19], s[24:25]
	v_lshl_add_u64 v[4:5], s[30:31], 4, v[8:9]
	s_lshl_b64 s[30:31], s[34:35], 4
	s_delay_alu instid0(SALU_CYCLE_1) | instskip(NEXT) | instid1(SALU_CYCLE_1)
	s_add_nc_u64 s[30:31], s[8:9], s[30:31]
	s_add_nc_u64 s[30:31], s[30:31], s[26:27]
	s_delay_alu instid0(VALU_DEP_1)
	v_lshl_add_u64 v[24:25], s[6:7], 4, v[4:5]
	global_load_b128 v[4:7], v2, s[30:31]
	global_load_b128 v[14:17], v[24:25], off
	s_wait_loadcnt 0x0
	s_wait_xcnt 0x0
	v_mul_f64_e32 v[24:25], v[16:17], v[6:7]
	v_mul_f64_e32 v[6:7], v[14:15], v[6:7]
	s_delay_alu instid0(VALU_DEP_2) | instskip(NEXT) | instid1(VALU_DEP_2)
	v_fma_f64 v[14:15], v[14:15], v[4:5], -v[24:25]
	v_fmac_f64_e32 v[6:7], v[16:17], v[4:5]
	s_delay_alu instid0(VALU_DEP_2) | instskip(NEXT) | instid1(VALU_DEP_2)
	v_add_f64_e32 v[14:15], 0, v[14:15]
	v_add_f64_e32 v[6:7], 0, v[6:7]
	s_or_b32 exec_lo, exec_lo, s4
	s_and_saveexec_b32 s5, s3
	s_cbranch_execz .LBB46_5
.LBB46_13:                              ;   in Loop: Header=BB46_3 Depth=1
	v_mad_nc_u64_u32 v[4:5], s14, s24, v[10:11]
	v_mad_nc_u64_u32 v[16:17], s20, s24, v[12:13]
	v_mov_b32_e32 v3, v0
	s_mov_b32 s30, 0
	s_delay_alu instid0(VALU_DEP_3) | instskip(NEXT) | instid1(VALU_DEP_3)
	v_mad_u32 v5, s15, s24, v5
	v_mad_u32 v17, s21, s24, v17
	s_branch .LBB46_15
.LBB46_14:                              ;   in Loop: Header=BB46_15 Depth=2
	s_wait_xcnt 0x0
	s_or_b32 exec_lo, exec_lo, s31
	v_add_nc_u32_e32 v3, 0x200, v3
	s_delay_alu instid0(VALU_DEP_4) | instskip(NEXT) | instid1(VALU_DEP_4)
	v_add_nc_u64_e32 v[4:5], s[16:17], v[4:5]
	v_add_nc_u64_e32 v[16:17], 0x2000, v[16:17]
	s_delay_alu instid0(VALU_DEP_3) | instskip(SKIP_1) | instid1(SALU_CYCLE_1)
	v_cmp_le_i32_e64 s4, s29, v3
	s_or_b32 s30, s4, s30
	s_and_not1_b32 exec_lo, exec_lo, s30
	s_cbranch_execz .LBB46_20
.LBB46_15:                              ;   Parent Loop BB46_3 Depth=1
                                        ; =>  This Inner Loop Header: Depth=2
	s_mov_b32 s31, exec_lo
	v_cmpx_lt_i32_e64 s6, v3
	s_cbranch_execz .LBB46_14
; %bb.16:                               ;   in Loop: Header=BB46_15 Depth=2
	global_load_b128 v[24:27], v[16:17], off offset:-8
	global_load_b128 v[28:31], v[4:5], off offset:-8
	s_wait_loadcnt 0x0
	v_mul_f64_e32 v[32:33], v[26:27], v[30:31]
	v_mul_f64_e32 v[30:31], v[24:25], v[30:31]
	s_delay_alu instid0(VALU_DEP_2) | instskip(NEXT) | instid1(VALU_DEP_2)
	v_fma_f64 v[24:25], v[24:25], v[28:29], -v[32:33]
	v_fmac_f64_e32 v[30:31], v[26:27], v[28:29]
	s_delay_alu instid0(VALU_DEP_2) | instskip(NEXT) | instid1(VALU_DEP_2)
	v_add_f64_e32 v[14:15], v[14:15], v[24:25]
	v_add_f64_e32 v[6:7], v[6:7], v[30:31]
	s_branch .LBB46_14
.LBB46_17:                              ;   in Loop: Header=BB46_3 Depth=1
	ds_load_b128 v[4:7], v18
	s_or_b32 exec_lo, exec_lo, s4
	s_and_saveexec_b32 s4, s0
	s_cbranch_execz .LBB46_11
.LBB46_18:                              ;   in Loop: Header=BB46_3 Depth=1
	s_wait_dscnt 0x0
	ds_bpermute_b32 v14, v20, v4
	ds_bpermute_b32 v15, v20, v5
	ds_bpermute_b32 v16, v20, v6
	ds_bpermute_b32 v17, v20, v7
	s_wait_dscnt 0x2
	v_add_f64_e32 v[4:5], v[4:5], v[14:15]
	s_wait_dscnt 0x0
	v_add_f64_e32 v[6:7], v[6:7], v[16:17]
	ds_bpermute_b32 v14, v21, v4
	ds_bpermute_b32 v15, v21, v5
	ds_bpermute_b32 v16, v21, v6
	ds_bpermute_b32 v17, v21, v7
	s_wait_dscnt 0x2
	v_add_f64_e32 v[4:5], v[4:5], v[14:15]
	s_wait_dscnt 0x0
	v_add_f64_e32 v[6:7], v[6:7], v[16:17]
	;; [unrolled: 8-line block ×4, first 2 shown]
	s_or_b32 exec_lo, exec_lo, s4
	s_and_saveexec_b32 s4, vcc_lo
	s_cbranch_execz .LBB46_2
.LBB46_19:                              ;   in Loop: Header=BB46_3 Depth=1
	s_mul_u64 s[30:31], s[22:23], s[24:25]
	s_delay_alu instid0(SALU_CYCLE_1) | instskip(NEXT) | instid1(SALU_CYCLE_1)
	s_lshl_b64 s[30:31], s[30:31], 4
	s_add_nc_u64 s[30:31], s[12:13], s[30:31]
	s_wait_dscnt 0x0
	global_store_b128 v2, v[4:7], s[30:31]
	s_branch .LBB46_2
.LBB46_20:                              ;   in Loop: Header=BB46_3 Depth=1
	s_or_b32 exec_lo, exec_lo, s30
	s_delay_alu instid0(SALU_CYCLE_1)
	s_or_b32 exec_lo, exec_lo, s5
	s_and_saveexec_b32 s4, s0
	s_cbranch_execnz .LBB46_6
	s_branch .LBB46_7
.LBB46_21:
	s_endpgm
	.section	.rodata,"a",@progbits
	.p2align	6, 0x0
	.amdhsa_kernel _ZL20rocblas_trmvt_kernelILi512ELb1ELb0ELb0EPK19rocblas_complex_numIdEPS1_S4_EviT3_lllT4_lllT5_li
		.amdhsa_group_segment_fixed_size 512
		.amdhsa_private_segment_fixed_size 0
		.amdhsa_kernarg_size 92
		.amdhsa_user_sgpr_count 2
		.amdhsa_user_sgpr_dispatch_ptr 0
		.amdhsa_user_sgpr_queue_ptr 0
		.amdhsa_user_sgpr_kernarg_segment_ptr 1
		.amdhsa_user_sgpr_dispatch_id 0
		.amdhsa_user_sgpr_kernarg_preload_length 0
		.amdhsa_user_sgpr_kernarg_preload_offset 0
		.amdhsa_user_sgpr_private_segment_size 0
		.amdhsa_wavefront_size32 1
		.amdhsa_uses_dynamic_stack 0
		.amdhsa_enable_private_segment 0
		.amdhsa_system_sgpr_workgroup_id_x 1
		.amdhsa_system_sgpr_workgroup_id_y 0
		.amdhsa_system_sgpr_workgroup_id_z 1
		.amdhsa_system_sgpr_workgroup_info 0
		.amdhsa_system_vgpr_workitem_id 0
		.amdhsa_next_free_vgpr 34
		.amdhsa_next_free_sgpr 36
		.amdhsa_named_barrier_count 0
		.amdhsa_reserve_vcc 1
		.amdhsa_float_round_mode_32 0
		.amdhsa_float_round_mode_16_64 0
		.amdhsa_float_denorm_mode_32 3
		.amdhsa_float_denorm_mode_16_64 3
		.amdhsa_fp16_overflow 0
		.amdhsa_memory_ordered 1
		.amdhsa_forward_progress 1
		.amdhsa_inst_pref_size 12
		.amdhsa_round_robin_scheduling 0
		.amdhsa_exception_fp_ieee_invalid_op 0
		.amdhsa_exception_fp_denorm_src 0
		.amdhsa_exception_fp_ieee_div_zero 0
		.amdhsa_exception_fp_ieee_overflow 0
		.amdhsa_exception_fp_ieee_underflow 0
		.amdhsa_exception_fp_ieee_inexact 0
		.amdhsa_exception_int_div_zero 0
	.end_amdhsa_kernel
	.section	.text._ZL20rocblas_trmvt_kernelILi512ELb1ELb0ELb0EPK19rocblas_complex_numIdEPS1_S4_EviT3_lllT4_lllT5_li,"axG",@progbits,_ZL20rocblas_trmvt_kernelILi512ELb1ELb0ELb0EPK19rocblas_complex_numIdEPS1_S4_EviT3_lllT4_lllT5_li,comdat
.Lfunc_end46:
	.size	_ZL20rocblas_trmvt_kernelILi512ELb1ELb0ELb0EPK19rocblas_complex_numIdEPS1_S4_EviT3_lllT4_lllT5_li, .Lfunc_end46-_ZL20rocblas_trmvt_kernelILi512ELb1ELb0ELb0EPK19rocblas_complex_numIdEPS1_S4_EviT3_lllT4_lllT5_li
                                        ; -- End function
	.set _ZL20rocblas_trmvt_kernelILi512ELb1ELb0ELb0EPK19rocblas_complex_numIdEPS1_S4_EviT3_lllT4_lllT5_li.num_vgpr, 34
	.set _ZL20rocblas_trmvt_kernelILi512ELb1ELb0ELb0EPK19rocblas_complex_numIdEPS1_S4_EviT3_lllT4_lllT5_li.num_agpr, 0
	.set _ZL20rocblas_trmvt_kernelILi512ELb1ELb0ELb0EPK19rocblas_complex_numIdEPS1_S4_EviT3_lllT4_lllT5_li.numbered_sgpr, 36
	.set _ZL20rocblas_trmvt_kernelILi512ELb1ELb0ELb0EPK19rocblas_complex_numIdEPS1_S4_EviT3_lllT4_lllT5_li.num_named_barrier, 0
	.set _ZL20rocblas_trmvt_kernelILi512ELb1ELb0ELb0EPK19rocblas_complex_numIdEPS1_S4_EviT3_lllT4_lllT5_li.private_seg_size, 0
	.set _ZL20rocblas_trmvt_kernelILi512ELb1ELb0ELb0EPK19rocblas_complex_numIdEPS1_S4_EviT3_lllT4_lllT5_li.uses_vcc, 1
	.set _ZL20rocblas_trmvt_kernelILi512ELb1ELb0ELb0EPK19rocblas_complex_numIdEPS1_S4_EviT3_lllT4_lllT5_li.uses_flat_scratch, 0
	.set _ZL20rocblas_trmvt_kernelILi512ELb1ELb0ELb0EPK19rocblas_complex_numIdEPS1_S4_EviT3_lllT4_lllT5_li.has_dyn_sized_stack, 0
	.set _ZL20rocblas_trmvt_kernelILi512ELb1ELb0ELb0EPK19rocblas_complex_numIdEPS1_S4_EviT3_lllT4_lllT5_li.has_recursion, 0
	.set _ZL20rocblas_trmvt_kernelILi512ELb1ELb0ELb0EPK19rocblas_complex_numIdEPS1_S4_EviT3_lllT4_lllT5_li.has_indirect_call, 0
	.section	.AMDGPU.csdata,"",@progbits
; Kernel info:
; codeLenInByte = 1456
; TotalNumSgprs: 38
; NumVgprs: 34
; ScratchSize: 0
; MemoryBound: 0
; FloatMode: 240
; IeeeMode: 1
; LDSByteSize: 512 bytes/workgroup (compile time only)
; SGPRBlocks: 0
; VGPRBlocks: 2
; NumSGPRsForWavesPerEU: 38
; NumVGPRsForWavesPerEU: 34
; NamedBarCnt: 0
; Occupancy: 16
; WaveLimiterHint : 0
; COMPUTE_PGM_RSRC2:SCRATCH_EN: 0
; COMPUTE_PGM_RSRC2:USER_SGPR: 2
; COMPUTE_PGM_RSRC2:TRAP_HANDLER: 0
; COMPUTE_PGM_RSRC2:TGID_X_EN: 1
; COMPUTE_PGM_RSRC2:TGID_Y_EN: 0
; COMPUTE_PGM_RSRC2:TGID_Z_EN: 1
; COMPUTE_PGM_RSRC2:TIDIG_COMP_CNT: 0
	.section	.text._ZL20rocblas_trmvt_kernelILi512ELb1ELb1ELb0EPK19rocblas_complex_numIdEPS1_S4_EviT3_lllT4_lllT5_li,"axG",@progbits,_ZL20rocblas_trmvt_kernelILi512ELb1ELb1ELb0EPK19rocblas_complex_numIdEPS1_S4_EviT3_lllT4_lllT5_li,comdat
	.globl	_ZL20rocblas_trmvt_kernelILi512ELb1ELb1ELb0EPK19rocblas_complex_numIdEPS1_S4_EviT3_lllT4_lllT5_li ; -- Begin function _ZL20rocblas_trmvt_kernelILi512ELb1ELb1ELb0EPK19rocblas_complex_numIdEPS1_S4_EviT3_lllT4_lllT5_li
	.p2align	8
	.type	_ZL20rocblas_trmvt_kernelILi512ELb1ELb1ELb0EPK19rocblas_complex_numIdEPS1_S4_EviT3_lllT4_lllT5_li,@function
_ZL20rocblas_trmvt_kernelILi512ELb1ELb1ELb0EPK19rocblas_complex_numIdEPS1_S4_EviT3_lllT4_lllT5_li: ; @_ZL20rocblas_trmvt_kernelILi512ELb1ELb1ELb0EPK19rocblas_complex_numIdEPS1_S4_EviT3_lllT4_lllT5_li
; %bb.0:
	s_load_b32 s28, s[0:1], 0x58
	s_bfe_u32 s2, ttmp6, 0x40014
	s_lshr_b32 s3, ttmp7, 16
	s_add_co_i32 s2, s2, 1
	s_bfe_u32 s4, ttmp6, 0x40008
	s_mul_i32 s2, s3, s2
	s_getreg_b32 s26, hwreg(HW_REG_IB_STS2, 6, 4)
	s_add_co_i32 s4, s4, s2
	s_cmp_eq_u32 s26, 0
	s_mov_b32 s25, 0
	s_cselect_b32 s24, s3, s4
	s_wait_kmcnt 0x0
	s_cmp_ge_u32 s24, s28
	s_cbranch_scc1 .LBB47_21
; %bb.1:
	s_clause 0x2
	s_load_b512 s[4:19], s[0:1], 0x8
	s_load_b32 s29, s[0:1], 0x0
	s_load_b128 s[20:23], s[0:1], 0x48
	v_dual_mov_b32 v2, 0 :: v_dual_bitop2_b32 v3, 31, v0 bitop3:0x40
	v_mbcnt_lo_u32_b32 v8, -1, 0
	v_lshrrev_b32_e32 v4, 1, v0
	s_bfe_u32 s2, ttmp6, 0x4000c
	s_delay_alu instid0(VALU_DEP_3)
	v_mov_b32_e32 v1, v2
	s_add_co_i32 s2, s2, 1
	s_and_b32 s3, ttmp6, 15
	s_mul_i32 s27, ttmp9, s2
	v_cmp_gt_u32_e64 s2, 24, v8
	s_add_co_i32 s27, s3, s27
	v_dual_mov_b32 v5, v2 :: v_dual_lshlrev_b32 v18, 4, v3
	v_lshl_or_b32 v19, v8, 2, 64
	v_cndmask_b32_e64 v9, 0, 8, s2
	v_cmp_gt_u32_e64 s2, 28, v8
	s_wait_xcnt 0x0
	v_cmp_gt_u32_e64 s0, 32, v0
	s_wait_kmcnt 0x0
	v_mul_u64_e32 v[6:7], s[16:17], v[0:1]
	s_lshl_b64 s[14:15], s[14:15], 4
	s_lshl_b64 s[30:31], s[6:7], 4
	v_cndmask_b32_e64 v10, 0, 4, s2
	v_cmp_gt_u32_e64 s2, 30, v8
	v_cmp_gt_i32_e64 s3, s29, v0
	s_cmp_eq_u32 s26, 0
	v_and_b32_e32 v1, 0xf0, v4
	s_cselect_b32 s6, ttmp9, s27
	v_cndmask_b32_e64 v11, 0, 2, s2
	v_cmp_ne_u32_e64 s2, 31, v8
	s_ashr_i32 s7, s6, 31
	v_add_lshl_u32 v20, v9, v8, 2
	s_mul_u64 s[8:9], s[8:9], s[6:7]
	v_add_lshl_u32 v21, v10, v8, 2
	v_add_co_ci_u32_e64 v12, null, 0, v8, s2
	v_cmp_eq_u32_e64 s2, 0, v3
	v_cndmask_b32_e64 v3, 0, v0, s3
	s_lshl_b64 s[26:27], s[8:9], 4
	s_add_nc_u64 s[8:9], s[4:5], s[30:31]
	s_add_nc_u64 s[30:31], s[26:27], s[30:31]
	v_add_lshl_u32 v22, v11, v8, 2
	v_dual_lshlrev_b32 v4, 4, v3 :: v_dual_lshlrev_b32 v23, 2, v12
	s_add_nc_u64 s[4:5], s[4:5], s[30:31]
	v_cmp_gt_u32_e64 s1, 16, v0
	v_cmp_eq_u32_e32 vcc_lo, 0, v0
	s_delay_alu instid0(VALU_DEP_3)
	v_add_nc_u64_e32 v[8:9], s[8:9], v[4:5]
	s_add_nc_u64 s[8:9], s[12:13], s[14:15]
	v_add_nc_u64_e32 v[4:5], s[4:5], v[4:5]
	s_mul_u64 s[4:5], s[16:17], s[6:7]
	v_lshl_add_u64 v[6:7], v[6:7], 4, s[8:9]
	s_lshl_b64 s[12:13], s[6:7], 4
	s_lshl_b64 s[14:15], s[18:19], 4
	v_add_nc_u64_e32 v[8:9], s[26:27], v[8:9]
	s_add_nc_u64 s[12:13], s[20:21], s[12:13]
	v_add_nc_u64_e32 v[10:11], 8, v[6:7]
	v_add_nc_u64_e32 v[12:13], 8, v[4:5]
	s_lshl_b64 s[16:17], s[16:17], 13
	s_lshl_b64 s[20:21], s[10:11], 4
	;; [unrolled: 1-line block ×3, first 2 shown]
	s_branch .LBB47_3
.LBB47_2:                               ;   in Loop: Header=BB47_3 Depth=1
	s_wait_xcnt 0x0
	s_or_b32 exec_lo, exec_lo, s4
	s_add_co_i32 s24, s24, 0x10000
	s_delay_alu instid0(SALU_CYCLE_1)
	s_cmp_lt_u32 s24, s28
	s_cbranch_scc0 .LBB47_21
.LBB47_3:                               ; =>This Loop Header: Depth=1
                                        ;     Child Loop BB47_15 Depth 2
	v_mov_b64_e32 v[14:15], 0
	s_wait_dscnt 0x0
	v_mov_b64_e32 v[6:7], 0
	s_and_saveexec_b32 s4, vcc_lo
	s_cbranch_execnz .LBB47_12
; %bb.4:                                ;   in Loop: Header=BB47_3 Depth=1
	s_or_b32 exec_lo, exec_lo, s4
	s_and_saveexec_b32 s5, s3
	s_cbranch_execnz .LBB47_13
.LBB47_5:                               ;   in Loop: Header=BB47_3 Depth=1
	s_or_b32 exec_lo, exec_lo, s5
	s_and_saveexec_b32 s4, s0
.LBB47_6:                               ;   in Loop: Header=BB47_3 Depth=1
	v_dual_mov_b32 v3, v2 :: v_dual_mov_b32 v4, v2
	v_mov_b32_e32 v5, v2
	ds_store_b128 v18, v[2:5]
.LBB47_7:                               ;   in Loop: Header=BB47_3 Depth=1
	s_or_b32 exec_lo, exec_lo, s4
	ds_bpermute_b32 v4, v19, v14
	ds_bpermute_b32 v5, v19, v15
	;; [unrolled: 1-line block ×4, first 2 shown]
	s_wait_dscnt 0x0
	s_barrier_signal -1
	s_barrier_wait -1
	v_add_f64_e32 v[4:5], v[14:15], v[4:5]
	v_add_f64_e32 v[6:7], v[6:7], v[16:17]
	ds_bpermute_b32 v14, v20, v4
	ds_bpermute_b32 v15, v20, v5
	ds_bpermute_b32 v16, v20, v6
	ds_bpermute_b32 v17, v20, v7
	s_wait_dscnt 0x2
	v_add_f64_e32 v[4:5], v[4:5], v[14:15]
	s_wait_dscnt 0x0
	v_add_f64_e32 v[6:7], v[6:7], v[16:17]
	ds_bpermute_b32 v14, v21, v4
	ds_bpermute_b32 v15, v21, v5
	ds_bpermute_b32 v16, v21, v6
	ds_bpermute_b32 v17, v21, v7
	s_wait_dscnt 0x2
	v_add_f64_e32 v[4:5], v[4:5], v[14:15]
	s_wait_dscnt 0x0
	;; [unrolled: 8-line block ×3, first 2 shown]
	v_add_f64_e32 v[14:15], v[6:7], v[16:17]
	ds_bpermute_b32 v6, v23, v4
	ds_bpermute_b32 v7, v23, v5
	;; [unrolled: 1-line block ×4, first 2 shown]
	s_and_saveexec_b32 s4, s2
	s_cbranch_execz .LBB47_9
; %bb.8:                                ;   in Loop: Header=BB47_3 Depth=1
	s_wait_dscnt 0x0
	v_add_f64_e32 v[16:17], v[14:15], v[16:17]
	v_add_f64_e32 v[14:15], v[4:5], v[6:7]
	ds_store_b128 v1, v[14:17]
.LBB47_9:                               ;   in Loop: Header=BB47_3 Depth=1
	s_or_b32 exec_lo, exec_lo, s4
	s_wait_dscnt 0x2
	v_mov_b64_e32 v[6:7], 0
	v_mov_b64_e32 v[4:5], 0
	s_wait_dscnt 0x0
	s_barrier_signal -1
	s_barrier_wait -1
	s_and_saveexec_b32 s4, s1
	s_cbranch_execnz .LBB47_17
; %bb.10:                               ;   in Loop: Header=BB47_3 Depth=1
	s_or_b32 exec_lo, exec_lo, s4
	s_and_saveexec_b32 s4, s0
	s_cbranch_execnz .LBB47_18
.LBB47_11:                              ;   in Loop: Header=BB47_3 Depth=1
	s_or_b32 exec_lo, exec_lo, s4
	s_and_saveexec_b32 s4, vcc_lo
	s_cbranch_execz .LBB47_2
	s_branch .LBB47_19
.LBB47_12:                              ;   in Loop: Header=BB47_3 Depth=1
	s_mul_u64 s[30:31], s[10:11], s[24:25]
	s_mul_u64 s[34:35], s[18:19], s[24:25]
	v_lshl_add_u64 v[4:5], s[30:31], 4, v[8:9]
	s_lshl_b64 s[30:31], s[34:35], 4
	s_delay_alu instid0(SALU_CYCLE_1) | instskip(NEXT) | instid1(SALU_CYCLE_1)
	s_add_nc_u64 s[30:31], s[8:9], s[30:31]
	s_add_nc_u64 s[30:31], s[30:31], s[26:27]
	s_delay_alu instid0(VALU_DEP_1)
	v_lshl_add_u64 v[24:25], s[6:7], 4, v[4:5]
	global_load_b128 v[4:7], v2, s[30:31]
	global_load_b128 v[14:17], v[24:25], off
	s_wait_loadcnt 0x0
	s_wait_xcnt 0x0
	v_mul_f64_e32 v[24:25], v[16:17], v[6:7]
	v_mul_f64_e32 v[16:17], v[16:17], v[4:5]
	s_delay_alu instid0(VALU_DEP_2) | instskip(NEXT) | instid1(VALU_DEP_2)
	v_fmac_f64_e32 v[24:25], v[14:15], v[4:5]
	v_fma_f64 v[4:5], v[14:15], v[6:7], -v[16:17]
	s_delay_alu instid0(VALU_DEP_2) | instskip(NEXT) | instid1(VALU_DEP_2)
	v_add_f64_e32 v[14:15], 0, v[24:25]
	v_add_f64_e32 v[6:7], 0, v[4:5]
	s_or_b32 exec_lo, exec_lo, s4
	s_and_saveexec_b32 s5, s3
	s_cbranch_execz .LBB47_5
.LBB47_13:                              ;   in Loop: Header=BB47_3 Depth=1
	v_mad_nc_u64_u32 v[4:5], s14, s24, v[10:11]
	v_mad_nc_u64_u32 v[16:17], s20, s24, v[12:13]
	v_mov_b32_e32 v3, v0
	s_mov_b32 s30, 0
	s_delay_alu instid0(VALU_DEP_3) | instskip(NEXT) | instid1(VALU_DEP_3)
	v_mad_u32 v5, s15, s24, v5
	v_mad_u32 v17, s21, s24, v17
	s_branch .LBB47_15
.LBB47_14:                              ;   in Loop: Header=BB47_15 Depth=2
	s_wait_xcnt 0x0
	s_or_b32 exec_lo, exec_lo, s31
	v_add_nc_u32_e32 v3, 0x200, v3
	s_delay_alu instid0(VALU_DEP_4) | instskip(NEXT) | instid1(VALU_DEP_4)
	v_add_nc_u64_e32 v[4:5], s[16:17], v[4:5]
	v_add_nc_u64_e32 v[16:17], 0x2000, v[16:17]
	s_delay_alu instid0(VALU_DEP_3) | instskip(SKIP_1) | instid1(SALU_CYCLE_1)
	v_cmp_le_i32_e64 s4, s29, v3
	s_or_b32 s30, s4, s30
	s_and_not1_b32 exec_lo, exec_lo, s30
	s_cbranch_execz .LBB47_20
.LBB47_15:                              ;   Parent Loop BB47_3 Depth=1
                                        ; =>  This Inner Loop Header: Depth=2
	s_mov_b32 s31, exec_lo
	v_cmpx_lt_i32_e64 s6, v3
	s_cbranch_execz .LBB47_14
; %bb.16:                               ;   in Loop: Header=BB47_15 Depth=2
	global_load_b128 v[24:27], v[16:17], off offset:-8
	global_load_b128 v[28:31], v[4:5], off offset:-8
	s_wait_loadcnt 0x0
	v_mul_f64_e32 v[32:33], v[26:27], v[30:31]
	v_mul_f64_e32 v[26:27], v[26:27], v[28:29]
	s_delay_alu instid0(VALU_DEP_2) | instskip(NEXT) | instid1(VALU_DEP_2)
	v_fmac_f64_e32 v[32:33], v[24:25], v[28:29]
	v_fma_f64 v[24:25], v[24:25], v[30:31], -v[26:27]
	s_delay_alu instid0(VALU_DEP_2) | instskip(NEXT) | instid1(VALU_DEP_2)
	v_add_f64_e32 v[14:15], v[14:15], v[32:33]
	v_add_f64_e32 v[6:7], v[6:7], v[24:25]
	s_branch .LBB47_14
.LBB47_17:                              ;   in Loop: Header=BB47_3 Depth=1
	ds_load_b128 v[4:7], v18
	s_or_b32 exec_lo, exec_lo, s4
	s_and_saveexec_b32 s4, s0
	s_cbranch_execz .LBB47_11
.LBB47_18:                              ;   in Loop: Header=BB47_3 Depth=1
	s_wait_dscnt 0x0
	ds_bpermute_b32 v14, v20, v4
	ds_bpermute_b32 v15, v20, v5
	ds_bpermute_b32 v16, v20, v6
	ds_bpermute_b32 v17, v20, v7
	s_wait_dscnt 0x2
	v_add_f64_e32 v[4:5], v[4:5], v[14:15]
	s_wait_dscnt 0x0
	v_add_f64_e32 v[6:7], v[6:7], v[16:17]
	ds_bpermute_b32 v14, v21, v4
	ds_bpermute_b32 v15, v21, v5
	ds_bpermute_b32 v16, v21, v6
	ds_bpermute_b32 v17, v21, v7
	s_wait_dscnt 0x2
	v_add_f64_e32 v[4:5], v[4:5], v[14:15]
	s_wait_dscnt 0x0
	v_add_f64_e32 v[6:7], v[6:7], v[16:17]
	;; [unrolled: 8-line block ×4, first 2 shown]
	s_or_b32 exec_lo, exec_lo, s4
	s_and_saveexec_b32 s4, vcc_lo
	s_cbranch_execz .LBB47_2
.LBB47_19:                              ;   in Loop: Header=BB47_3 Depth=1
	s_mul_u64 s[30:31], s[22:23], s[24:25]
	s_delay_alu instid0(SALU_CYCLE_1) | instskip(NEXT) | instid1(SALU_CYCLE_1)
	s_lshl_b64 s[30:31], s[30:31], 4
	s_add_nc_u64 s[30:31], s[12:13], s[30:31]
	s_wait_dscnt 0x0
	global_store_b128 v2, v[4:7], s[30:31]
	s_branch .LBB47_2
.LBB47_20:                              ;   in Loop: Header=BB47_3 Depth=1
	s_or_b32 exec_lo, exec_lo, s30
	s_delay_alu instid0(SALU_CYCLE_1)
	s_or_b32 exec_lo, exec_lo, s5
	s_and_saveexec_b32 s4, s0
	s_cbranch_execnz .LBB47_6
	s_branch .LBB47_7
.LBB47_21:
	s_endpgm
	.section	.rodata,"a",@progbits
	.p2align	6, 0x0
	.amdhsa_kernel _ZL20rocblas_trmvt_kernelILi512ELb1ELb1ELb0EPK19rocblas_complex_numIdEPS1_S4_EviT3_lllT4_lllT5_li
		.amdhsa_group_segment_fixed_size 512
		.amdhsa_private_segment_fixed_size 0
		.amdhsa_kernarg_size 92
		.amdhsa_user_sgpr_count 2
		.amdhsa_user_sgpr_dispatch_ptr 0
		.amdhsa_user_sgpr_queue_ptr 0
		.amdhsa_user_sgpr_kernarg_segment_ptr 1
		.amdhsa_user_sgpr_dispatch_id 0
		.amdhsa_user_sgpr_kernarg_preload_length 0
		.amdhsa_user_sgpr_kernarg_preload_offset 0
		.amdhsa_user_sgpr_private_segment_size 0
		.amdhsa_wavefront_size32 1
		.amdhsa_uses_dynamic_stack 0
		.amdhsa_enable_private_segment 0
		.amdhsa_system_sgpr_workgroup_id_x 1
		.amdhsa_system_sgpr_workgroup_id_y 0
		.amdhsa_system_sgpr_workgroup_id_z 1
		.amdhsa_system_sgpr_workgroup_info 0
		.amdhsa_system_vgpr_workitem_id 0
		.amdhsa_next_free_vgpr 34
		.amdhsa_next_free_sgpr 36
		.amdhsa_named_barrier_count 0
		.amdhsa_reserve_vcc 1
		.amdhsa_float_round_mode_32 0
		.amdhsa_float_round_mode_16_64 0
		.amdhsa_float_denorm_mode_32 3
		.amdhsa_float_denorm_mode_16_64 3
		.amdhsa_fp16_overflow 0
		.amdhsa_memory_ordered 1
		.amdhsa_forward_progress 1
		.amdhsa_inst_pref_size 12
		.amdhsa_round_robin_scheduling 0
		.amdhsa_exception_fp_ieee_invalid_op 0
		.amdhsa_exception_fp_denorm_src 0
		.amdhsa_exception_fp_ieee_div_zero 0
		.amdhsa_exception_fp_ieee_overflow 0
		.amdhsa_exception_fp_ieee_underflow 0
		.amdhsa_exception_fp_ieee_inexact 0
		.amdhsa_exception_int_div_zero 0
	.end_amdhsa_kernel
	.section	.text._ZL20rocblas_trmvt_kernelILi512ELb1ELb1ELb0EPK19rocblas_complex_numIdEPS1_S4_EviT3_lllT4_lllT5_li,"axG",@progbits,_ZL20rocblas_trmvt_kernelILi512ELb1ELb1ELb0EPK19rocblas_complex_numIdEPS1_S4_EviT3_lllT4_lllT5_li,comdat
.Lfunc_end47:
	.size	_ZL20rocblas_trmvt_kernelILi512ELb1ELb1ELb0EPK19rocblas_complex_numIdEPS1_S4_EviT3_lllT4_lllT5_li, .Lfunc_end47-_ZL20rocblas_trmvt_kernelILi512ELb1ELb1ELb0EPK19rocblas_complex_numIdEPS1_S4_EviT3_lllT4_lllT5_li
                                        ; -- End function
	.set _ZL20rocblas_trmvt_kernelILi512ELb1ELb1ELb0EPK19rocblas_complex_numIdEPS1_S4_EviT3_lllT4_lllT5_li.num_vgpr, 34
	.set _ZL20rocblas_trmvt_kernelILi512ELb1ELb1ELb0EPK19rocblas_complex_numIdEPS1_S4_EviT3_lllT4_lllT5_li.num_agpr, 0
	.set _ZL20rocblas_trmvt_kernelILi512ELb1ELb1ELb0EPK19rocblas_complex_numIdEPS1_S4_EviT3_lllT4_lllT5_li.numbered_sgpr, 36
	.set _ZL20rocblas_trmvt_kernelILi512ELb1ELb1ELb0EPK19rocblas_complex_numIdEPS1_S4_EviT3_lllT4_lllT5_li.num_named_barrier, 0
	.set _ZL20rocblas_trmvt_kernelILi512ELb1ELb1ELb0EPK19rocblas_complex_numIdEPS1_S4_EviT3_lllT4_lllT5_li.private_seg_size, 0
	.set _ZL20rocblas_trmvt_kernelILi512ELb1ELb1ELb0EPK19rocblas_complex_numIdEPS1_S4_EviT3_lllT4_lllT5_li.uses_vcc, 1
	.set _ZL20rocblas_trmvt_kernelILi512ELb1ELb1ELb0EPK19rocblas_complex_numIdEPS1_S4_EviT3_lllT4_lllT5_li.uses_flat_scratch, 0
	.set _ZL20rocblas_trmvt_kernelILi512ELb1ELb1ELb0EPK19rocblas_complex_numIdEPS1_S4_EviT3_lllT4_lllT5_li.has_dyn_sized_stack, 0
	.set _ZL20rocblas_trmvt_kernelILi512ELb1ELb1ELb0EPK19rocblas_complex_numIdEPS1_S4_EviT3_lllT4_lllT5_li.has_recursion, 0
	.set _ZL20rocblas_trmvt_kernelILi512ELb1ELb1ELb0EPK19rocblas_complex_numIdEPS1_S4_EviT3_lllT4_lllT5_li.has_indirect_call, 0
	.section	.AMDGPU.csdata,"",@progbits
; Kernel info:
; codeLenInByte = 1456
; TotalNumSgprs: 38
; NumVgprs: 34
; ScratchSize: 0
; MemoryBound: 0
; FloatMode: 240
; IeeeMode: 1
; LDSByteSize: 512 bytes/workgroup (compile time only)
; SGPRBlocks: 0
; VGPRBlocks: 2
; NumSGPRsForWavesPerEU: 38
; NumVGPRsForWavesPerEU: 34
; NamedBarCnt: 0
; Occupancy: 16
; WaveLimiterHint : 0
; COMPUTE_PGM_RSRC2:SCRATCH_EN: 0
; COMPUTE_PGM_RSRC2:USER_SGPR: 2
; COMPUTE_PGM_RSRC2:TRAP_HANDLER: 0
; COMPUTE_PGM_RSRC2:TGID_X_EN: 1
; COMPUTE_PGM_RSRC2:TGID_Y_EN: 0
; COMPUTE_PGM_RSRC2:TGID_Z_EN: 1
; COMPUTE_PGM_RSRC2:TIDIG_COMP_CNT: 0
	.section	.text._ZL20rocblas_trmvn_kernelILi64ELi16ELb0ELb1EPKPKfPKPfS4_EviT3_lllT4_lllT5_li,"axG",@progbits,_ZL20rocblas_trmvn_kernelILi64ELi16ELb0ELb1EPKPKfPKPfS4_EviT3_lllT4_lllT5_li,comdat
	.globl	_ZL20rocblas_trmvn_kernelILi64ELi16ELb0ELb1EPKPKfPKPfS4_EviT3_lllT4_lllT5_li ; -- Begin function _ZL20rocblas_trmvn_kernelILi64ELi16ELb0ELb1EPKPKfPKPfS4_EviT3_lllT4_lllT5_li
	.p2align	8
	.type	_ZL20rocblas_trmvn_kernelILi64ELi16ELb0ELb1EPKPKfPKPfS4_EviT3_lllT4_lllT5_li,@function
_ZL20rocblas_trmvn_kernelILi64ELi16ELb0ELb1EPKPKfPKPfS4_EviT3_lllT4_lllT5_li: ; @_ZL20rocblas_trmvn_kernelILi64ELi16ELb0ELb1EPKPKfPKPfS4_EviT3_lllT4_lllT5_li
; %bb.0:
	s_load_b32 s3, s[0:1], 0x58
	s_bfe_u32 s2, ttmp6, 0x40014
	s_lshr_b32 s4, ttmp7, 16
	s_add_co_i32 s2, s2, 1
	s_bfe_u32 s6, ttmp6, 0x40008
	s_mul_i32 s5, s4, s2
	s_getreg_b32 s2, hwreg(HW_REG_IB_STS2, 6, 4)
	s_add_co_i32 s6, s6, s5
	s_cmp_eq_u32 s2, 0
	s_mov_b32 s17, 0
	s_cselect_b32 s16, s4, s6
	s_wait_kmcnt 0x0
	s_cmp_ge_u32 s16, s3
	s_cbranch_scc1 .LBB48_14
; %bb.1:
	s_clause 0x2
	s_load_b32 s4, s[0:1], 0x6c
	s_load_b64 s[20:21], s[0:1], 0x18
	s_load_b64 s[22:23], s[0:1], 0x38
	s_bfe_u32 s5, ttmp6, 0x4000c
	s_and_b32 s6, ttmp6, 15
	s_add_co_i32 s5, s5, 1
	v_and_b32_e32 v12, 0x3ff, v0
	s_mul_i32 s5, ttmp9, s5
	v_bfe_u32 v2, v0, 10, 10
	s_add_co_i32 s8, s6, s5
	s_load_b128 s[12:15], s[0:1], 0x8
	s_delay_alu instid0(VALU_DEP_1)
	v_dual_lshlrev_b32 v15, 2, v12 :: v_dual_lshlrev_b32 v16, 8, v2
	s_wait_kmcnt 0x0
	s_and_b32 s19, s4, 0xffff
	s_cmp_eq_u32 s2, 0
	s_load_b128 s[4:7], s[0:1], 0x28
	s_cselect_b32 s2, ttmp9, s8
	s_clause 0x1
	s_load_b32 s18, s[0:1], 0x0
	s_load_b128 s[8:11], s[0:1], 0x48
	v_lshl_add_u32 v0, s2, 6, v12
	v_mov_b32_e32 v3, 0
	v_mad_u32_u24 v14, v2, s19, v12
	v_cmp_eq_u32_e64 s2, 0, v2
	s_delay_alu instid0(VALU_DEP_4) | instskip(NEXT) | instid1(VALU_DEP_4)
	v_ashrrev_i32_e32 v1, 31, v0
	v_mul_u64_e32 v[6:7], s[20:21], v[2:3]
	v_mul_u64_e32 v[10:11], s[22:23], v[2:3]
	v_mul_u32_u24_e32 v3, s19, v2
	s_wait_xcnt 0x0
	v_cmp_gt_u32_e64 s1, 64, v14
	v_mul_u64_e32 v[4:5], s[22:23], v[0:1]
	v_lshlrev_b64_e32 v[8:9], 2, v[0:1]
	s_lshl_b64 s[14:15], s[14:15], 2
	v_lshl_add_u32 v1, v3, 2, v15
	v_add_nc_u32_e32 v3, v15, v16
	s_wait_kmcnt 0x0
	s_lshl_b64 s[6:7], s[6:7], 2
	v_cmp_gt_i32_e32 vcc_lo, s18, v0
	v_cmp_gt_i32_e64 s0, s18, v2
	s_and_b32 s19, s2, vcc_lo
	v_lshl_add_u64 v[12:13], v[6:7], 2, s[14:15]
	v_add_nc_u64_e32 v[6:7], s[8:9], v[8:9]
	v_lshl_add_u64 v[10:11], v[10:11], 2, s[6:7]
	s_lshl_b64 s[8:9], s[22:23], 6
	s_lshl_b64 s[14:15], s[20:21], 6
	v_add_nc_u64_e32 v[8:9], v[12:13], v[8:9]
	s_branch .LBB48_3
.LBB48_2:                               ;   in Loop: Header=BB48_3 Depth=1
	s_wait_xcnt 0x0
	s_or_b32 exec_lo, exec_lo, s2
	s_add_co_i32 s16, s16, 0x10000
	s_delay_alu instid0(SALU_CYCLE_1)
	s_cmp_lt_u32 s16, s3
	s_cbranch_scc0 .LBB48_14
.LBB48_3:                               ; =>This Loop Header: Depth=1
                                        ;     Child Loop BB48_8 Depth 2
	v_mov_b32_e32 v16, s16
	s_clause 0x1
	global_load_b64 v[14:15], v16, s[12:13] scale_offset
	global_load_b64 v[12:13], v16, s[4:5] scale_offset
	s_wait_xcnt 0x0
	v_mov_b32_e32 v16, 0
	s_and_saveexec_b32 s2, s19
	s_cbranch_execz .LBB48_5
; %bb.4:                                ;   in Loop: Header=BB48_3 Depth=1
	s_wait_loadcnt 0x0
	v_add_nc_u64_e32 v[16:17], s[6:7], v[12:13]
	s_delay_alu instid0(VALU_DEP_1)
	v_lshl_add_u64 v[16:17], v[4:5], 2, v[16:17]
	flat_load_b32 v16, v[16:17]
.LBB48_5:                               ;   in Loop: Header=BB48_3 Depth=1
	s_wait_xcnt 0x0
	s_or_b32 exec_lo, exec_lo, s2
	s_and_saveexec_b32 s20, s0
	s_cbranch_execz .LBB48_11
; %bb.6:                                ;   in Loop: Header=BB48_3 Depth=1
	s_wait_loadcnt 0x0
	v_add_nc_u64_e32 v[12:13], v[12:13], v[10:11]
	v_add_nc_u64_e32 v[14:15], v[14:15], v[8:9]
	v_mov_b32_e32 v17, v2
	s_mov_b32 s21, 0
	s_branch .LBB48_8
.LBB48_7:                               ;   in Loop: Header=BB48_8 Depth=2
	s_wait_xcnt 0x0
	s_or_b32 exec_lo, exec_lo, s22
	v_add_nc_u32_e32 v17, 16, v17
	v_add_nc_u64_e32 v[12:13], s[8:9], v[12:13]
	v_add_nc_u64_e32 v[14:15], s[14:15], v[14:15]
	s_delay_alu instid0(VALU_DEP_3) | instskip(SKIP_1) | instid1(SALU_CYCLE_1)
	v_cmp_le_i32_e64 s2, s18, v17
	s_or_b32 s21, s2, s21
	s_and_not1_b32 exec_lo, exec_lo, s21
	s_cbranch_execz .LBB48_10
.LBB48_8:                               ;   Parent Loop BB48_3 Depth=1
                                        ; =>  This Inner Loop Header: Depth=2
	s_mov_b32 s22, exec_lo
	s_delay_alu instid0(VALU_DEP_1)
	v_cmpx_gt_i32_e64 v17, v0
	s_cbranch_execz .LBB48_7
; %bb.9:                                ;   in Loop: Header=BB48_8 Depth=2
	flat_load_b32 v18, v[14:15]
	flat_load_b32 v19, v[12:13]
	s_wait_loadcnt_dscnt 0x0
	v_fmac_f32_e32 v16, v18, v19
	s_branch .LBB48_7
.LBB48_10:                              ;   in Loop: Header=BB48_3 Depth=1
	s_or_b32 exec_lo, exec_lo, s21
.LBB48_11:                              ;   in Loop: Header=BB48_3 Depth=1
	s_delay_alu instid0(SALU_CYCLE_1)
	s_or_b32 exec_lo, exec_lo, s20
	s_wait_loadcnt_dscnt 0x0
	ds_store_b32 v3, v16
	s_wait_dscnt 0x0
	s_barrier_signal -1
	s_barrier_wait -1
	s_and_saveexec_b32 s2, s1
	s_cbranch_execz .LBB48_2
; %bb.12:                               ;   in Loop: Header=BB48_3 Depth=1
	ds_load_2addr_stride64_b32 v[12:13], v1 offset1:1
	ds_load_2addr_stride64_b32 v[14:15], v1 offset0:2 offset1:3
	ds_load_2addr_stride64_b32 v[16:17], v1 offset0:4 offset1:5
	;; [unrolled: 1-line block ×3, first 2 shown]
	s_wait_dscnt 0x3
	v_add_f32_e32 v12, v12, v13
	s_wait_dscnt 0x2
	s_delay_alu instid0(VALU_DEP_1) | instskip(NEXT) | instid1(VALU_DEP_1)
	v_add_f32_e32 v12, v14, v12
	v_add_f32_e32 v12, v15, v12
	s_wait_dscnt 0x1
	s_delay_alu instid0(VALU_DEP_1) | instskip(SKIP_3) | instid1(VALU_DEP_1)
	v_add_f32_e32 v14, v16, v12
	ds_load_2addr_stride64_b32 v[12:13], v1 offset0:8 offset1:9
	v_add_f32_e32 v14, v17, v14
	s_wait_dscnt 0x1
	v_add_f32_e32 v16, v18, v14
	ds_load_2addr_stride64_b32 v[14:15], v1 offset0:10 offset1:11
	v_add_f32_e32 v20, v19, v16
	ds_load_2addr_stride64_b32 v[16:17], v1 offset0:12 offset1:13
	ds_load_2addr_stride64_b32 v[18:19], v1 offset0:14 offset1:15
	s_wait_dscnt 0x3
	v_add_f32_e32 v12, v12, v20
	s_delay_alu instid0(VALU_DEP_1) | instskip(SKIP_1) | instid1(VALU_DEP_1)
	v_add_f32_e32 v12, v13, v12
	s_wait_dscnt 0x2
	v_add_f32_e32 v12, v14, v12
	s_delay_alu instid0(VALU_DEP_1) | instskip(SKIP_1) | instid1(VALU_DEP_1)
	v_add_f32_e32 v12, v15, v12
	;; [unrolled: 4-line block ×3, first 2 shown]
	s_wait_dscnt 0x0
	v_add_f32_e32 v12, v18, v12
	s_delay_alu instid0(VALU_DEP_1)
	v_add_f32_e32 v12, v19, v12
	ds_store_b32 v1, v12
	s_and_b32 exec_lo, exec_lo, vcc_lo
	s_cbranch_execz .LBB48_2
; %bb.13:                               ;   in Loop: Header=BB48_3 Depth=1
	s_mul_u64 s[20:21], s[10:11], s[16:17]
	s_delay_alu instid0(SALU_CYCLE_1)
	v_lshl_add_u64 v[14:15], s[20:21], 2, v[6:7]
	global_store_b32 v[14:15], v12, off
	s_branch .LBB48_2
.LBB48_14:
	s_endpgm
	.section	.rodata,"a",@progbits
	.p2align	6, 0x0
	.amdhsa_kernel _ZL20rocblas_trmvn_kernelILi64ELi16ELb0ELb1EPKPKfPKPfS4_EviT3_lllT4_lllT5_li
		.amdhsa_group_segment_fixed_size 4096
		.amdhsa_private_segment_fixed_size 0
		.amdhsa_kernarg_size 352
		.amdhsa_user_sgpr_count 2
		.amdhsa_user_sgpr_dispatch_ptr 0
		.amdhsa_user_sgpr_queue_ptr 0
		.amdhsa_user_sgpr_kernarg_segment_ptr 1
		.amdhsa_user_sgpr_dispatch_id 0
		.amdhsa_user_sgpr_kernarg_preload_length 0
		.amdhsa_user_sgpr_kernarg_preload_offset 0
		.amdhsa_user_sgpr_private_segment_size 0
		.amdhsa_wavefront_size32 1
		.amdhsa_uses_dynamic_stack 0
		.amdhsa_enable_private_segment 0
		.amdhsa_system_sgpr_workgroup_id_x 1
		.amdhsa_system_sgpr_workgroup_id_y 0
		.amdhsa_system_sgpr_workgroup_id_z 1
		.amdhsa_system_sgpr_workgroup_info 0
		.amdhsa_system_vgpr_workitem_id 1
		.amdhsa_next_free_vgpr 21
		.amdhsa_next_free_sgpr 24
		.amdhsa_named_barrier_count 0
		.amdhsa_reserve_vcc 1
		.amdhsa_float_round_mode_32 0
		.amdhsa_float_round_mode_16_64 0
		.amdhsa_float_denorm_mode_32 3
		.amdhsa_float_denorm_mode_16_64 3
		.amdhsa_fp16_overflow 0
		.amdhsa_memory_ordered 1
		.amdhsa_forward_progress 1
		.amdhsa_inst_pref_size 7
		.amdhsa_round_robin_scheduling 0
		.amdhsa_exception_fp_ieee_invalid_op 0
		.amdhsa_exception_fp_denorm_src 0
		.amdhsa_exception_fp_ieee_div_zero 0
		.amdhsa_exception_fp_ieee_overflow 0
		.amdhsa_exception_fp_ieee_underflow 0
		.amdhsa_exception_fp_ieee_inexact 0
		.amdhsa_exception_int_div_zero 0
	.end_amdhsa_kernel
	.section	.text._ZL20rocblas_trmvn_kernelILi64ELi16ELb0ELb1EPKPKfPKPfS4_EviT3_lllT4_lllT5_li,"axG",@progbits,_ZL20rocblas_trmvn_kernelILi64ELi16ELb0ELb1EPKPKfPKPfS4_EviT3_lllT4_lllT5_li,comdat
.Lfunc_end48:
	.size	_ZL20rocblas_trmvn_kernelILi64ELi16ELb0ELb1EPKPKfPKPfS4_EviT3_lllT4_lllT5_li, .Lfunc_end48-_ZL20rocblas_trmvn_kernelILi64ELi16ELb0ELb1EPKPKfPKPfS4_EviT3_lllT4_lllT5_li
                                        ; -- End function
	.set _ZL20rocblas_trmvn_kernelILi64ELi16ELb0ELb1EPKPKfPKPfS4_EviT3_lllT4_lllT5_li.num_vgpr, 21
	.set _ZL20rocblas_trmvn_kernelILi64ELi16ELb0ELb1EPKPKfPKPfS4_EviT3_lllT4_lllT5_li.num_agpr, 0
	.set _ZL20rocblas_trmvn_kernelILi64ELi16ELb0ELb1EPKPKfPKPfS4_EviT3_lllT4_lllT5_li.numbered_sgpr, 24
	.set _ZL20rocblas_trmvn_kernelILi64ELi16ELb0ELb1EPKPKfPKPfS4_EviT3_lllT4_lllT5_li.num_named_barrier, 0
	.set _ZL20rocblas_trmvn_kernelILi64ELi16ELb0ELb1EPKPKfPKPfS4_EviT3_lllT4_lllT5_li.private_seg_size, 0
	.set _ZL20rocblas_trmvn_kernelILi64ELi16ELb0ELb1EPKPKfPKPfS4_EviT3_lllT4_lllT5_li.uses_vcc, 1
	.set _ZL20rocblas_trmvn_kernelILi64ELi16ELb0ELb1EPKPKfPKPfS4_EviT3_lllT4_lllT5_li.uses_flat_scratch, 0
	.set _ZL20rocblas_trmvn_kernelILi64ELi16ELb0ELb1EPKPKfPKPfS4_EviT3_lllT4_lllT5_li.has_dyn_sized_stack, 0
	.set _ZL20rocblas_trmvn_kernelILi64ELi16ELb0ELb1EPKPKfPKPfS4_EviT3_lllT4_lllT5_li.has_recursion, 0
	.set _ZL20rocblas_trmvn_kernelILi64ELi16ELb0ELb1EPKPKfPKPfS4_EviT3_lllT4_lllT5_li.has_indirect_call, 0
	.section	.AMDGPU.csdata,"",@progbits
; Kernel info:
; codeLenInByte = 876
; TotalNumSgprs: 26
; NumVgprs: 21
; ScratchSize: 0
; MemoryBound: 0
; FloatMode: 240
; IeeeMode: 1
; LDSByteSize: 4096 bytes/workgroup (compile time only)
; SGPRBlocks: 0
; VGPRBlocks: 1
; NumSGPRsForWavesPerEU: 26
; NumVGPRsForWavesPerEU: 21
; NamedBarCnt: 0
; Occupancy: 16
; WaveLimiterHint : 1
; COMPUTE_PGM_RSRC2:SCRATCH_EN: 0
; COMPUTE_PGM_RSRC2:USER_SGPR: 2
; COMPUTE_PGM_RSRC2:TRAP_HANDLER: 0
; COMPUTE_PGM_RSRC2:TGID_X_EN: 1
; COMPUTE_PGM_RSRC2:TGID_Y_EN: 0
; COMPUTE_PGM_RSRC2:TGID_Z_EN: 1
; COMPUTE_PGM_RSRC2:TIDIG_COMP_CNT: 1
	.section	.text._ZL20rocblas_trmvt_kernelILi512ELb0ELb0ELb1EPKPKfPKPfS4_EviT3_lllT4_lllT5_li,"axG",@progbits,_ZL20rocblas_trmvt_kernelILi512ELb0ELb0ELb1EPKPKfPKPfS4_EviT3_lllT4_lllT5_li,comdat
	.globl	_ZL20rocblas_trmvt_kernelILi512ELb0ELb0ELb1EPKPKfPKPfS4_EviT3_lllT4_lllT5_li ; -- Begin function _ZL20rocblas_trmvt_kernelILi512ELb0ELb0ELb1EPKPKfPKPfS4_EviT3_lllT4_lllT5_li
	.p2align	8
	.type	_ZL20rocblas_trmvt_kernelILi512ELb0ELb0ELb1EPKPKfPKPfS4_EviT3_lllT4_lllT5_li,@function
_ZL20rocblas_trmvt_kernelILi512ELb0ELb0ELb1EPKPKfPKPfS4_EviT3_lllT4_lllT5_li: ; @_ZL20rocblas_trmvt_kernelILi512ELb0ELb0ELb1EPKPKfPKPfS4_EviT3_lllT4_lllT5_li
; %bb.0:
	s_load_b32 s28, s[0:1], 0x58
	s_bfe_u32 s2, ttmp6, 0x40014
	s_lshr_b32 s4, ttmp7, 16
	s_add_co_i32 s2, s2, 1
	s_bfe_u32 s5, ttmp6, 0x40008
	s_mul_i32 s2, s4, s2
	s_getreg_b32 s3, hwreg(HW_REG_IB_STS2, 6, 4)
	s_add_co_i32 s5, s5, s2
	s_cmp_eq_u32 s3, 0
	s_mov_b32 s17, 0
	s_cselect_b32 s16, s4, s5
	s_wait_kmcnt 0x0
	s_cmp_ge_u32 s16, s28
	s_cbranch_scc1 .LBB49_21
; %bb.1:
	s_clause 0x4
	s_load_b64 s[24:25], s[0:1], 0x38
	s_load_b32 s29, s[0:1], 0x0
	s_load_b128 s[8:11], s[0:1], 0x8
	s_load_b64 s[20:21], s[0:1], 0x18
	s_load_b128 s[12:15], s[0:1], 0x28
	v_dual_mov_b32 v3, 0 :: v_dual_bitop2_b32 v2, 31, v0 bitop3:0x40
	v_mbcnt_lo_u32_b32 v6, -1, 0
	s_load_b128 s[4:7], s[0:1], 0x48
	s_wait_xcnt 0x0
	s_bfe_u32 s1, ttmp6, 0x4000c
	v_dual_mov_b32 v1, v3 :: v_dual_lshrrev_b32 v7, 3, v0
	s_add_co_i32 s2, s1, 1
	s_and_b32 s18, ttmp6, 15
	s_mul_i32 s19, ttmp9, s2
	v_cmp_gt_u32_e64 s2, 24, v6
	s_add_co_i32 s18, s18, s19
	s_cmp_eq_u32 s3, 0
	v_cmp_gt_u32_e64 s0, 32, v0
	s_cselect_b32 s18, ttmp9, s18
	s_wait_kmcnt 0x0
	v_mul_u64_e32 v[4:5], s[24:25], v[0:1]
	v_cndmask_b32_e64 v8, 0, 8, s2
	v_cmp_gt_u32_e64 s2, 28, v6
	v_cmp_gt_i32_e64 s3, s29, v0
	v_dual_lshlrev_b32 v1, 2, v2 :: v_dual_bitop2_b32 v11, 60, v7 bitop3:0x40
	s_lshl_b64 s[14:15], s[14:15], 2
	v_cndmask_b32_e64 v9, 0, 4, s2
	v_cmp_gt_u32_e64 s2, 30, v6
	s_ashr_i32 s19, s18, 31
	v_cmp_gt_u32_e64 s1, 16, v0
	v_lshl_or_b32 v10, v6, 2, 64
	v_add_lshl_u32 v12, v8, v6, 2
	v_cndmask_b32_e64 v14, 0, 2, s2
	v_cmp_ne_u32_e64 s2, 31, v6
	v_add_lshl_u32 v13, v9, v6, 2
	s_lshl_b64 s[22:23], s[18:19], 2
	s_mul_u64 s[26:27], s[24:25], s[18:19]
	v_add_lshl_u32 v14, v14, v6, 2
	v_add_co_ci_u32_e64 v15, null, 0, v6, s2
	v_cmp_eq_u32_e64 s2, 0, v2
	v_cndmask_b32_e64 v2, 0, v0, s3
	s_mul_u64 s[20:21], s[20:21], s[18:19]
	v_lshlrev_b32_e32 v15, 2, v15
	s_add_nc_u64 s[22:23], s[4:5], s[22:23]
	s_lshl_b64 s[24:25], s[24:25], 11
	v_lshlrev_b32_e32 v2, 2, v2
	s_lshl_b64 s[26:27], s[26:27], 2
	s_lshl_b64 s[10:11], s[10:11], 2
	v_cmp_eq_u32_e32 vcc_lo, 0, v0
	v_lshl_add_u64 v[4:5], v[4:5], 2, s[14:15]
	s_branch .LBB49_3
.LBB49_2:                               ;   in Loop: Header=BB49_3 Depth=1
	s_wait_xcnt 0x0
	s_or_b32 exec_lo, exec_lo, s4
	s_add_co_i32 s16, s16, 0x10000
	s_delay_alu instid0(SALU_CYCLE_1)
	s_cmp_lt_u32 s16, s28
	s_cbranch_scc0 .LBB49_21
.LBB49_3:                               ; =>This Loop Header: Depth=1
                                        ;     Child Loop BB49_15 Depth 2
	v_mov_b32_e32 v16, s16
	global_load_b64 v[8:9], v16, s[8:9] scale_offset
	s_wait_dscnt 0x0
	global_load_b64 v[6:7], v16, s[12:13] scale_offset
	s_wait_xcnt 0x0
	v_mov_b32_e32 v16, 0
	s_and_saveexec_b32 s4, vcc_lo
	s_cbranch_execnz .LBB49_12
; %bb.4:                                ;   in Loop: Header=BB49_3 Depth=1
	s_or_b32 exec_lo, exec_lo, s4
	s_and_saveexec_b32 s5, s3
	s_cbranch_execnz .LBB49_13
.LBB49_5:                               ;   in Loop: Header=BB49_3 Depth=1
	s_or_b32 exec_lo, exec_lo, s5
	s_and_saveexec_b32 s4, s0
.LBB49_6:                               ;   in Loop: Header=BB49_3 Depth=1
	ds_store_b32 v1, v3
.LBB49_7:                               ;   in Loop: Header=BB49_3 Depth=1
	s_or_b32 exec_lo, exec_lo, s4
	s_wait_loadcnt 0x0
	ds_bpermute_b32 v6, v10, v16
	s_wait_dscnt 0x0
	s_barrier_signal -1
	s_barrier_wait -1
	v_add_f32_e32 v6, v16, v6
	ds_bpermute_b32 v7, v12, v6
	s_wait_dscnt 0x0
	v_add_f32_e32 v6, v6, v7
	ds_bpermute_b32 v7, v13, v6
	s_wait_dscnt 0x0
	;; [unrolled: 3-line block ×3, first 2 shown]
	v_add_f32_e32 v6, v6, v7
	ds_bpermute_b32 v7, v15, v6
	s_and_saveexec_b32 s4, s2
	s_cbranch_execz .LBB49_9
; %bb.8:                                ;   in Loop: Header=BB49_3 Depth=1
	s_wait_dscnt 0x0
	v_add_f32_e32 v6, v6, v7
	ds_store_b32 v11, v6
.LBB49_9:                               ;   in Loop: Header=BB49_3 Depth=1
	s_or_b32 exec_lo, exec_lo, s4
	v_mov_b32_e32 v6, 0
	s_wait_dscnt 0x0
	s_barrier_signal -1
	s_barrier_wait -1
	s_and_saveexec_b32 s4, s1
	s_cbranch_execnz .LBB49_17
; %bb.10:                               ;   in Loop: Header=BB49_3 Depth=1
	s_or_b32 exec_lo, exec_lo, s4
	s_and_saveexec_b32 s4, s0
	s_cbranch_execnz .LBB49_18
.LBB49_11:                              ;   in Loop: Header=BB49_3 Depth=1
	s_or_b32 exec_lo, exec_lo, s4
	s_and_saveexec_b32 s4, vcc_lo
	s_cbranch_execz .LBB49_2
	s_branch .LBB49_19
.LBB49_12:                              ;   in Loop: Header=BB49_3 Depth=1
	s_wait_loadcnt 0x0
	v_add_nc_u64_e32 v[16:17], s[14:15], v[6:7]
	s_delay_alu instid0(VALU_DEP_1)
	v_add_nc_u64_e32 v[16:17], s[26:27], v[16:17]
	flat_load_b32 v16, v[16:17]
	s_wait_loadcnt_dscnt 0x0
	s_wait_xcnt 0x0
	v_add_f32_e32 v16, 0, v16
	s_or_b32 exec_lo, exec_lo, s4
	s_and_saveexec_b32 s5, s3
	s_cbranch_execz .LBB49_5
.LBB49_13:                              ;   in Loop: Header=BB49_3 Depth=1
	s_wait_loadcnt 0x1
	v_add_nc_u64_e32 v[8:9], s[10:11], v[8:9]
	s_wait_loadcnt 0x0
	v_add_nc_u64_e32 v[6:7], v[6:7], v[4:5]
	v_mov_b32_e32 v17, v0
	s_mov_b32 s19, 0
	s_delay_alu instid0(VALU_DEP_3) | instskip(NEXT) | instid1(VALU_DEP_1)
	v_add_nc_u64_e32 v[8:9], v[8:9], v[2:3]
	v_lshl_add_u64 v[8:9], s[20:21], 2, v[8:9]
	s_branch .LBB49_15
.LBB49_14:                              ;   in Loop: Header=BB49_15 Depth=2
	s_wait_xcnt 0x0
	s_or_b32 exec_lo, exec_lo, s30
	v_add_nc_u32_e32 v17, 0x200, v17
	v_add_nc_u64_e32 v[8:9], 0x800, v[8:9]
	v_add_nc_u64_e32 v[6:7], s[24:25], v[6:7]
	s_delay_alu instid0(VALU_DEP_3) | instskip(SKIP_1) | instid1(SALU_CYCLE_1)
	v_cmp_le_i32_e64 s4, s29, v17
	s_or_b32 s19, s4, s19
	s_and_not1_b32 exec_lo, exec_lo, s19
	s_cbranch_execz .LBB49_20
.LBB49_15:                              ;   Parent Loop BB49_3 Depth=1
                                        ; =>  This Inner Loop Header: Depth=2
	s_mov_b32 s30, exec_lo
	v_cmpx_gt_i32_e64 s18, v17
	s_cbranch_execz .LBB49_14
; %bb.16:                               ;   in Loop: Header=BB49_15 Depth=2
	flat_load_b32 v18, v[8:9]
	flat_load_b32 v19, v[6:7]
	s_wait_loadcnt_dscnt 0x0
	v_fmac_f32_e32 v16, v18, v19
	s_branch .LBB49_14
.LBB49_17:                              ;   in Loop: Header=BB49_3 Depth=1
	ds_load_b32 v6, v1
	s_or_b32 exec_lo, exec_lo, s4
	s_and_saveexec_b32 s4, s0
	s_cbranch_execz .LBB49_11
.LBB49_18:                              ;   in Loop: Header=BB49_3 Depth=1
	s_wait_dscnt 0x0
	ds_bpermute_b32 v7, v12, v6
	s_wait_dscnt 0x0
	v_add_f32_e32 v6, v6, v7
	ds_bpermute_b32 v7, v13, v6
	s_wait_dscnt 0x0
	v_add_f32_e32 v6, v6, v7
	;; [unrolled: 3-line block ×4, first 2 shown]
	s_or_b32 exec_lo, exec_lo, s4
	s_and_saveexec_b32 s4, vcc_lo
	s_cbranch_execz .LBB49_2
.LBB49_19:                              ;   in Loop: Header=BB49_3 Depth=1
	s_mul_u64 s[30:31], s[6:7], s[16:17]
	s_delay_alu instid0(SALU_CYCLE_1) | instskip(NEXT) | instid1(SALU_CYCLE_1)
	s_lshl_b64 s[30:31], s[30:31], 2
	s_add_nc_u64 s[30:31], s[22:23], s[30:31]
	s_wait_dscnt 0x0
	global_store_b32 v3, v6, s[30:31]
	s_branch .LBB49_2
.LBB49_20:                              ;   in Loop: Header=BB49_3 Depth=1
	s_or_b32 exec_lo, exec_lo, s19
	s_delay_alu instid0(SALU_CYCLE_1)
	s_or_b32 exec_lo, exec_lo, s5
	s_and_saveexec_b32 s4, s0
	s_cbranch_execnz .LBB49_6
	s_branch .LBB49_7
.LBB49_21:
	s_endpgm
	.section	.rodata,"a",@progbits
	.p2align	6, 0x0
	.amdhsa_kernel _ZL20rocblas_trmvt_kernelILi512ELb0ELb0ELb1EPKPKfPKPfS4_EviT3_lllT4_lllT5_li
		.amdhsa_group_segment_fixed_size 128
		.amdhsa_private_segment_fixed_size 0
		.amdhsa_kernarg_size 92
		.amdhsa_user_sgpr_count 2
		.amdhsa_user_sgpr_dispatch_ptr 0
		.amdhsa_user_sgpr_queue_ptr 0
		.amdhsa_user_sgpr_kernarg_segment_ptr 1
		.amdhsa_user_sgpr_dispatch_id 0
		.amdhsa_user_sgpr_kernarg_preload_length 0
		.amdhsa_user_sgpr_kernarg_preload_offset 0
		.amdhsa_user_sgpr_private_segment_size 0
		.amdhsa_wavefront_size32 1
		.amdhsa_uses_dynamic_stack 0
		.amdhsa_enable_private_segment 0
		.amdhsa_system_sgpr_workgroup_id_x 1
		.amdhsa_system_sgpr_workgroup_id_y 0
		.amdhsa_system_sgpr_workgroup_id_z 1
		.amdhsa_system_sgpr_workgroup_info 0
		.amdhsa_system_vgpr_workitem_id 0
		.amdhsa_next_free_vgpr 20
		.amdhsa_next_free_sgpr 32
		.amdhsa_named_barrier_count 0
		.amdhsa_reserve_vcc 1
		.amdhsa_float_round_mode_32 0
		.amdhsa_float_round_mode_16_64 0
		.amdhsa_float_denorm_mode_32 3
		.amdhsa_float_denorm_mode_16_64 3
		.amdhsa_fp16_overflow 0
		.amdhsa_memory_ordered 1
		.amdhsa_forward_progress 1
		.amdhsa_inst_pref_size 9
		.amdhsa_round_robin_scheduling 0
		.amdhsa_exception_fp_ieee_invalid_op 0
		.amdhsa_exception_fp_denorm_src 0
		.amdhsa_exception_fp_ieee_div_zero 0
		.amdhsa_exception_fp_ieee_overflow 0
		.amdhsa_exception_fp_ieee_underflow 0
		.amdhsa_exception_fp_ieee_inexact 0
		.amdhsa_exception_int_div_zero 0
	.end_amdhsa_kernel
	.section	.text._ZL20rocblas_trmvt_kernelILi512ELb0ELb0ELb1EPKPKfPKPfS4_EviT3_lllT4_lllT5_li,"axG",@progbits,_ZL20rocblas_trmvt_kernelILi512ELb0ELb0ELb1EPKPKfPKPfS4_EviT3_lllT4_lllT5_li,comdat
.Lfunc_end49:
	.size	_ZL20rocblas_trmvt_kernelILi512ELb0ELb0ELb1EPKPKfPKPfS4_EviT3_lllT4_lllT5_li, .Lfunc_end49-_ZL20rocblas_trmvt_kernelILi512ELb0ELb0ELb1EPKPKfPKPfS4_EviT3_lllT4_lllT5_li
                                        ; -- End function
	.set _ZL20rocblas_trmvt_kernelILi512ELb0ELb0ELb1EPKPKfPKPfS4_EviT3_lllT4_lllT5_li.num_vgpr, 20
	.set _ZL20rocblas_trmvt_kernelILi512ELb0ELb0ELb1EPKPKfPKPfS4_EviT3_lllT4_lllT5_li.num_agpr, 0
	.set _ZL20rocblas_trmvt_kernelILi512ELb0ELb0ELb1EPKPKfPKPfS4_EviT3_lllT4_lllT5_li.numbered_sgpr, 32
	.set _ZL20rocblas_trmvt_kernelILi512ELb0ELb0ELb1EPKPKfPKPfS4_EviT3_lllT4_lllT5_li.num_named_barrier, 0
	.set _ZL20rocblas_trmvt_kernelILi512ELb0ELb0ELb1EPKPKfPKPfS4_EviT3_lllT4_lllT5_li.private_seg_size, 0
	.set _ZL20rocblas_trmvt_kernelILi512ELb0ELb0ELb1EPKPKfPKPfS4_EviT3_lllT4_lllT5_li.uses_vcc, 1
	.set _ZL20rocblas_trmvt_kernelILi512ELb0ELb0ELb1EPKPKfPKPfS4_EviT3_lllT4_lllT5_li.uses_flat_scratch, 0
	.set _ZL20rocblas_trmvt_kernelILi512ELb0ELb0ELb1EPKPKfPKPfS4_EviT3_lllT4_lllT5_li.has_dyn_sized_stack, 0
	.set _ZL20rocblas_trmvt_kernelILi512ELb0ELb0ELb1EPKPKfPKPfS4_EviT3_lllT4_lllT5_li.has_recursion, 0
	.set _ZL20rocblas_trmvt_kernelILi512ELb0ELb0ELb1EPKPKfPKPfS4_EviT3_lllT4_lllT5_li.has_indirect_call, 0
	.section	.AMDGPU.csdata,"",@progbits
; Kernel info:
; codeLenInByte = 1040
; TotalNumSgprs: 34
; NumVgprs: 20
; ScratchSize: 0
; MemoryBound: 0
; FloatMode: 240
; IeeeMode: 1
; LDSByteSize: 128 bytes/workgroup (compile time only)
; SGPRBlocks: 0
; VGPRBlocks: 1
; NumSGPRsForWavesPerEU: 34
; NumVGPRsForWavesPerEU: 20
; NamedBarCnt: 0
; Occupancy: 16
; WaveLimiterHint : 1
; COMPUTE_PGM_RSRC2:SCRATCH_EN: 0
; COMPUTE_PGM_RSRC2:USER_SGPR: 2
; COMPUTE_PGM_RSRC2:TRAP_HANDLER: 0
; COMPUTE_PGM_RSRC2:TGID_X_EN: 1
; COMPUTE_PGM_RSRC2:TGID_Y_EN: 0
; COMPUTE_PGM_RSRC2:TGID_Z_EN: 1
; COMPUTE_PGM_RSRC2:TIDIG_COMP_CNT: 0
	.section	.text._ZL20rocblas_trmvt_kernelILi512ELb0ELb1ELb1EPKPKfPKPfS4_EviT3_lllT4_lllT5_li,"axG",@progbits,_ZL20rocblas_trmvt_kernelILi512ELb0ELb1ELb1EPKPKfPKPfS4_EviT3_lllT4_lllT5_li,comdat
	.globl	_ZL20rocblas_trmvt_kernelILi512ELb0ELb1ELb1EPKPKfPKPfS4_EviT3_lllT4_lllT5_li ; -- Begin function _ZL20rocblas_trmvt_kernelILi512ELb0ELb1ELb1EPKPKfPKPfS4_EviT3_lllT4_lllT5_li
	.p2align	8
	.type	_ZL20rocblas_trmvt_kernelILi512ELb0ELb1ELb1EPKPKfPKPfS4_EviT3_lllT4_lllT5_li,@function
_ZL20rocblas_trmvt_kernelILi512ELb0ELb1ELb1EPKPKfPKPfS4_EviT3_lllT4_lllT5_li: ; @_ZL20rocblas_trmvt_kernelILi512ELb0ELb1ELb1EPKPKfPKPfS4_EviT3_lllT4_lllT5_li
; %bb.0:
	s_load_b32 s28, s[0:1], 0x58
	s_bfe_u32 s2, ttmp6, 0x40014
	s_lshr_b32 s4, ttmp7, 16
	s_add_co_i32 s2, s2, 1
	s_bfe_u32 s5, ttmp6, 0x40008
	s_mul_i32 s2, s4, s2
	s_getreg_b32 s3, hwreg(HW_REG_IB_STS2, 6, 4)
	s_add_co_i32 s5, s5, s2
	s_cmp_eq_u32 s3, 0
	s_mov_b32 s17, 0
	s_cselect_b32 s16, s4, s5
	s_wait_kmcnt 0x0
	s_cmp_ge_u32 s16, s28
	s_cbranch_scc1 .LBB50_21
; %bb.1:
	s_clause 0x4
	s_load_b64 s[24:25], s[0:1], 0x38
	s_load_b32 s29, s[0:1], 0x0
	s_load_b128 s[8:11], s[0:1], 0x8
	s_load_b64 s[20:21], s[0:1], 0x18
	s_load_b128 s[12:15], s[0:1], 0x28
	v_dual_mov_b32 v3, 0 :: v_dual_bitop2_b32 v2, 31, v0 bitop3:0x40
	v_mbcnt_lo_u32_b32 v6, -1, 0
	s_load_b128 s[4:7], s[0:1], 0x48
	s_wait_xcnt 0x0
	s_bfe_u32 s1, ttmp6, 0x4000c
	v_dual_mov_b32 v1, v3 :: v_dual_lshrrev_b32 v7, 3, v0
	s_add_co_i32 s2, s1, 1
	s_and_b32 s18, ttmp6, 15
	s_mul_i32 s19, ttmp9, s2
	v_cmp_gt_u32_e64 s2, 24, v6
	s_add_co_i32 s18, s18, s19
	s_cmp_eq_u32 s3, 0
	v_cmp_gt_u32_e64 s0, 32, v0
	s_cselect_b32 s18, ttmp9, s18
	s_wait_kmcnt 0x0
	v_mul_u64_e32 v[4:5], s[24:25], v[0:1]
	v_cndmask_b32_e64 v8, 0, 8, s2
	v_cmp_gt_u32_e64 s2, 28, v6
	v_cmp_gt_i32_e64 s3, s29, v0
	v_dual_lshlrev_b32 v1, 2, v2 :: v_dual_bitop2_b32 v11, 60, v7 bitop3:0x40
	s_lshl_b64 s[14:15], s[14:15], 2
	v_cndmask_b32_e64 v9, 0, 4, s2
	v_cmp_gt_u32_e64 s2, 30, v6
	s_ashr_i32 s19, s18, 31
	v_cmp_gt_u32_e64 s1, 16, v0
	v_lshl_or_b32 v10, v6, 2, 64
	v_add_lshl_u32 v12, v8, v6, 2
	v_cndmask_b32_e64 v14, 0, 2, s2
	v_cmp_ne_u32_e64 s2, 31, v6
	v_add_lshl_u32 v13, v9, v6, 2
	s_lshl_b64 s[22:23], s[18:19], 2
	s_mul_u64 s[26:27], s[24:25], s[18:19]
	v_add_lshl_u32 v14, v14, v6, 2
	v_add_co_ci_u32_e64 v15, null, 0, v6, s2
	v_cmp_eq_u32_e64 s2, 0, v2
	v_cndmask_b32_e64 v2, 0, v0, s3
	s_mul_u64 s[20:21], s[20:21], s[18:19]
	v_lshlrev_b32_e32 v15, 2, v15
	s_add_nc_u64 s[22:23], s[4:5], s[22:23]
	s_lshl_b64 s[24:25], s[24:25], 11
	v_lshlrev_b32_e32 v2, 2, v2
	s_lshl_b64 s[26:27], s[26:27], 2
	s_lshl_b64 s[10:11], s[10:11], 2
	v_cmp_eq_u32_e32 vcc_lo, 0, v0
	v_lshl_add_u64 v[4:5], v[4:5], 2, s[14:15]
	s_branch .LBB50_3
.LBB50_2:                               ;   in Loop: Header=BB50_3 Depth=1
	s_wait_xcnt 0x0
	s_or_b32 exec_lo, exec_lo, s4
	s_add_co_i32 s16, s16, 0x10000
	s_delay_alu instid0(SALU_CYCLE_1)
	s_cmp_lt_u32 s16, s28
	s_cbranch_scc0 .LBB50_21
.LBB50_3:                               ; =>This Loop Header: Depth=1
                                        ;     Child Loop BB50_15 Depth 2
	v_mov_b32_e32 v16, s16
	global_load_b64 v[8:9], v16, s[8:9] scale_offset
	s_wait_dscnt 0x0
	global_load_b64 v[6:7], v16, s[12:13] scale_offset
	s_wait_xcnt 0x0
	v_mov_b32_e32 v16, 0
	s_and_saveexec_b32 s4, vcc_lo
	s_cbranch_execnz .LBB50_12
; %bb.4:                                ;   in Loop: Header=BB50_3 Depth=1
	s_or_b32 exec_lo, exec_lo, s4
	s_and_saveexec_b32 s5, s3
	s_cbranch_execnz .LBB50_13
.LBB50_5:                               ;   in Loop: Header=BB50_3 Depth=1
	s_or_b32 exec_lo, exec_lo, s5
	s_and_saveexec_b32 s4, s0
.LBB50_6:                               ;   in Loop: Header=BB50_3 Depth=1
	ds_store_b32 v1, v3
.LBB50_7:                               ;   in Loop: Header=BB50_3 Depth=1
	s_or_b32 exec_lo, exec_lo, s4
	s_wait_loadcnt 0x0
	ds_bpermute_b32 v6, v10, v16
	s_wait_dscnt 0x0
	s_barrier_signal -1
	s_barrier_wait -1
	v_add_f32_e32 v6, v16, v6
	ds_bpermute_b32 v7, v12, v6
	s_wait_dscnt 0x0
	v_add_f32_e32 v6, v6, v7
	ds_bpermute_b32 v7, v13, v6
	s_wait_dscnt 0x0
	;; [unrolled: 3-line block ×3, first 2 shown]
	v_add_f32_e32 v6, v6, v7
	ds_bpermute_b32 v7, v15, v6
	s_and_saveexec_b32 s4, s2
	s_cbranch_execz .LBB50_9
; %bb.8:                                ;   in Loop: Header=BB50_3 Depth=1
	s_wait_dscnt 0x0
	v_add_f32_e32 v6, v6, v7
	ds_store_b32 v11, v6
.LBB50_9:                               ;   in Loop: Header=BB50_3 Depth=1
	s_or_b32 exec_lo, exec_lo, s4
	v_mov_b32_e32 v6, 0
	s_wait_dscnt 0x0
	s_barrier_signal -1
	s_barrier_wait -1
	s_and_saveexec_b32 s4, s1
	s_cbranch_execnz .LBB50_17
; %bb.10:                               ;   in Loop: Header=BB50_3 Depth=1
	s_or_b32 exec_lo, exec_lo, s4
	s_and_saveexec_b32 s4, s0
	s_cbranch_execnz .LBB50_18
.LBB50_11:                              ;   in Loop: Header=BB50_3 Depth=1
	s_or_b32 exec_lo, exec_lo, s4
	s_and_saveexec_b32 s4, vcc_lo
	s_cbranch_execz .LBB50_2
	s_branch .LBB50_19
.LBB50_12:                              ;   in Loop: Header=BB50_3 Depth=1
	s_wait_loadcnt 0x0
	v_add_nc_u64_e32 v[16:17], s[14:15], v[6:7]
	s_delay_alu instid0(VALU_DEP_1)
	v_add_nc_u64_e32 v[16:17], s[26:27], v[16:17]
	flat_load_b32 v16, v[16:17]
	s_wait_loadcnt_dscnt 0x0
	s_wait_xcnt 0x0
	v_add_f32_e32 v16, 0, v16
	s_or_b32 exec_lo, exec_lo, s4
	s_and_saveexec_b32 s5, s3
	s_cbranch_execz .LBB50_5
.LBB50_13:                              ;   in Loop: Header=BB50_3 Depth=1
	s_wait_loadcnt 0x1
	v_add_nc_u64_e32 v[8:9], s[10:11], v[8:9]
	s_wait_loadcnt 0x0
	v_add_nc_u64_e32 v[6:7], v[6:7], v[4:5]
	v_mov_b32_e32 v17, v0
	s_mov_b32 s19, 0
	s_delay_alu instid0(VALU_DEP_3) | instskip(NEXT) | instid1(VALU_DEP_1)
	v_add_nc_u64_e32 v[8:9], v[8:9], v[2:3]
	v_lshl_add_u64 v[8:9], s[20:21], 2, v[8:9]
	s_branch .LBB50_15
.LBB50_14:                              ;   in Loop: Header=BB50_15 Depth=2
	s_wait_xcnt 0x0
	s_or_b32 exec_lo, exec_lo, s30
	v_add_nc_u32_e32 v17, 0x200, v17
	v_add_nc_u64_e32 v[8:9], 0x800, v[8:9]
	v_add_nc_u64_e32 v[6:7], s[24:25], v[6:7]
	s_delay_alu instid0(VALU_DEP_3) | instskip(SKIP_1) | instid1(SALU_CYCLE_1)
	v_cmp_le_i32_e64 s4, s29, v17
	s_or_b32 s19, s4, s19
	s_and_not1_b32 exec_lo, exec_lo, s19
	s_cbranch_execz .LBB50_20
.LBB50_15:                              ;   Parent Loop BB50_3 Depth=1
                                        ; =>  This Inner Loop Header: Depth=2
	s_mov_b32 s30, exec_lo
	v_cmpx_gt_i32_e64 s18, v17
	s_cbranch_execz .LBB50_14
; %bb.16:                               ;   in Loop: Header=BB50_15 Depth=2
	flat_load_b32 v18, v[8:9]
	flat_load_b32 v19, v[6:7]
	s_wait_loadcnt_dscnt 0x0
	v_fmac_f32_e32 v16, v18, v19
	s_branch .LBB50_14
.LBB50_17:                              ;   in Loop: Header=BB50_3 Depth=1
	ds_load_b32 v6, v1
	s_or_b32 exec_lo, exec_lo, s4
	s_and_saveexec_b32 s4, s0
	s_cbranch_execz .LBB50_11
.LBB50_18:                              ;   in Loop: Header=BB50_3 Depth=1
	s_wait_dscnt 0x0
	ds_bpermute_b32 v7, v12, v6
	s_wait_dscnt 0x0
	v_add_f32_e32 v6, v6, v7
	ds_bpermute_b32 v7, v13, v6
	s_wait_dscnt 0x0
	v_add_f32_e32 v6, v6, v7
	;; [unrolled: 3-line block ×4, first 2 shown]
	s_or_b32 exec_lo, exec_lo, s4
	s_and_saveexec_b32 s4, vcc_lo
	s_cbranch_execz .LBB50_2
.LBB50_19:                              ;   in Loop: Header=BB50_3 Depth=1
	s_mul_u64 s[30:31], s[6:7], s[16:17]
	s_delay_alu instid0(SALU_CYCLE_1) | instskip(NEXT) | instid1(SALU_CYCLE_1)
	s_lshl_b64 s[30:31], s[30:31], 2
	s_add_nc_u64 s[30:31], s[22:23], s[30:31]
	s_wait_dscnt 0x0
	global_store_b32 v3, v6, s[30:31]
	s_branch .LBB50_2
.LBB50_20:                              ;   in Loop: Header=BB50_3 Depth=1
	s_or_b32 exec_lo, exec_lo, s19
	s_delay_alu instid0(SALU_CYCLE_1)
	s_or_b32 exec_lo, exec_lo, s5
	s_and_saveexec_b32 s4, s0
	s_cbranch_execnz .LBB50_6
	s_branch .LBB50_7
.LBB50_21:
	s_endpgm
	.section	.rodata,"a",@progbits
	.p2align	6, 0x0
	.amdhsa_kernel _ZL20rocblas_trmvt_kernelILi512ELb0ELb1ELb1EPKPKfPKPfS4_EviT3_lllT4_lllT5_li
		.amdhsa_group_segment_fixed_size 128
		.amdhsa_private_segment_fixed_size 0
		.amdhsa_kernarg_size 92
		.amdhsa_user_sgpr_count 2
		.amdhsa_user_sgpr_dispatch_ptr 0
		.amdhsa_user_sgpr_queue_ptr 0
		.amdhsa_user_sgpr_kernarg_segment_ptr 1
		.amdhsa_user_sgpr_dispatch_id 0
		.amdhsa_user_sgpr_kernarg_preload_length 0
		.amdhsa_user_sgpr_kernarg_preload_offset 0
		.amdhsa_user_sgpr_private_segment_size 0
		.amdhsa_wavefront_size32 1
		.amdhsa_uses_dynamic_stack 0
		.amdhsa_enable_private_segment 0
		.amdhsa_system_sgpr_workgroup_id_x 1
		.amdhsa_system_sgpr_workgroup_id_y 0
		.amdhsa_system_sgpr_workgroup_id_z 1
		.amdhsa_system_sgpr_workgroup_info 0
		.amdhsa_system_vgpr_workitem_id 0
		.amdhsa_next_free_vgpr 20
		.amdhsa_next_free_sgpr 32
		.amdhsa_named_barrier_count 0
		.amdhsa_reserve_vcc 1
		.amdhsa_float_round_mode_32 0
		.amdhsa_float_round_mode_16_64 0
		.amdhsa_float_denorm_mode_32 3
		.amdhsa_float_denorm_mode_16_64 3
		.amdhsa_fp16_overflow 0
		.amdhsa_memory_ordered 1
		.amdhsa_forward_progress 1
		.amdhsa_inst_pref_size 9
		.amdhsa_round_robin_scheduling 0
		.amdhsa_exception_fp_ieee_invalid_op 0
		.amdhsa_exception_fp_denorm_src 0
		.amdhsa_exception_fp_ieee_div_zero 0
		.amdhsa_exception_fp_ieee_overflow 0
		.amdhsa_exception_fp_ieee_underflow 0
		.amdhsa_exception_fp_ieee_inexact 0
		.amdhsa_exception_int_div_zero 0
	.end_amdhsa_kernel
	.section	.text._ZL20rocblas_trmvt_kernelILi512ELb0ELb1ELb1EPKPKfPKPfS4_EviT3_lllT4_lllT5_li,"axG",@progbits,_ZL20rocblas_trmvt_kernelILi512ELb0ELb1ELb1EPKPKfPKPfS4_EviT3_lllT4_lllT5_li,comdat
.Lfunc_end50:
	.size	_ZL20rocblas_trmvt_kernelILi512ELb0ELb1ELb1EPKPKfPKPfS4_EviT3_lllT4_lllT5_li, .Lfunc_end50-_ZL20rocblas_trmvt_kernelILi512ELb0ELb1ELb1EPKPKfPKPfS4_EviT3_lllT4_lllT5_li
                                        ; -- End function
	.set _ZL20rocblas_trmvt_kernelILi512ELb0ELb1ELb1EPKPKfPKPfS4_EviT3_lllT4_lllT5_li.num_vgpr, 20
	.set _ZL20rocblas_trmvt_kernelILi512ELb0ELb1ELb1EPKPKfPKPfS4_EviT3_lllT4_lllT5_li.num_agpr, 0
	.set _ZL20rocblas_trmvt_kernelILi512ELb0ELb1ELb1EPKPKfPKPfS4_EviT3_lllT4_lllT5_li.numbered_sgpr, 32
	.set _ZL20rocblas_trmvt_kernelILi512ELb0ELb1ELb1EPKPKfPKPfS4_EviT3_lllT4_lllT5_li.num_named_barrier, 0
	.set _ZL20rocblas_trmvt_kernelILi512ELb0ELb1ELb1EPKPKfPKPfS4_EviT3_lllT4_lllT5_li.private_seg_size, 0
	.set _ZL20rocblas_trmvt_kernelILi512ELb0ELb1ELb1EPKPKfPKPfS4_EviT3_lllT4_lllT5_li.uses_vcc, 1
	.set _ZL20rocblas_trmvt_kernelILi512ELb0ELb1ELb1EPKPKfPKPfS4_EviT3_lllT4_lllT5_li.uses_flat_scratch, 0
	.set _ZL20rocblas_trmvt_kernelILi512ELb0ELb1ELb1EPKPKfPKPfS4_EviT3_lllT4_lllT5_li.has_dyn_sized_stack, 0
	.set _ZL20rocblas_trmvt_kernelILi512ELb0ELb1ELb1EPKPKfPKPfS4_EviT3_lllT4_lllT5_li.has_recursion, 0
	.set _ZL20rocblas_trmvt_kernelILi512ELb0ELb1ELb1EPKPKfPKPfS4_EviT3_lllT4_lllT5_li.has_indirect_call, 0
	.section	.AMDGPU.csdata,"",@progbits
; Kernel info:
; codeLenInByte = 1040
; TotalNumSgprs: 34
; NumVgprs: 20
; ScratchSize: 0
; MemoryBound: 0
; FloatMode: 240
; IeeeMode: 1
; LDSByteSize: 128 bytes/workgroup (compile time only)
; SGPRBlocks: 0
; VGPRBlocks: 1
; NumSGPRsForWavesPerEU: 34
; NumVGPRsForWavesPerEU: 20
; NamedBarCnt: 0
; Occupancy: 16
; WaveLimiterHint : 1
; COMPUTE_PGM_RSRC2:SCRATCH_EN: 0
; COMPUTE_PGM_RSRC2:USER_SGPR: 2
; COMPUTE_PGM_RSRC2:TRAP_HANDLER: 0
; COMPUTE_PGM_RSRC2:TGID_X_EN: 1
; COMPUTE_PGM_RSRC2:TGID_Y_EN: 0
; COMPUTE_PGM_RSRC2:TGID_Z_EN: 1
; COMPUTE_PGM_RSRC2:TIDIG_COMP_CNT: 0
	.section	.text._ZL20rocblas_trmvn_kernelILi64ELi16ELb0ELb0EPKPKfPKPfS4_EviT3_lllT4_lllT5_li,"axG",@progbits,_ZL20rocblas_trmvn_kernelILi64ELi16ELb0ELb0EPKPKfPKPfS4_EviT3_lllT4_lllT5_li,comdat
	.globl	_ZL20rocblas_trmvn_kernelILi64ELi16ELb0ELb0EPKPKfPKPfS4_EviT3_lllT4_lllT5_li ; -- Begin function _ZL20rocblas_trmvn_kernelILi64ELi16ELb0ELb0EPKPKfPKPfS4_EviT3_lllT4_lllT5_li
	.p2align	8
	.type	_ZL20rocblas_trmvn_kernelILi64ELi16ELb0ELb0EPKPKfPKPfS4_EviT3_lllT4_lllT5_li,@function
_ZL20rocblas_trmvn_kernelILi64ELi16ELb0ELb0EPKPKfPKPfS4_EviT3_lllT4_lllT5_li: ; @_ZL20rocblas_trmvn_kernelILi64ELi16ELb0ELb0EPKPKfPKPfS4_EviT3_lllT4_lllT5_li
; %bb.0:
	s_load_b32 s3, s[0:1], 0x58
	s_bfe_u32 s2, ttmp6, 0x40014
	s_lshr_b32 s4, ttmp7, 16
	s_add_co_i32 s2, s2, 1
	s_bfe_u32 s6, ttmp6, 0x40008
	s_mul_i32 s5, s4, s2
	s_getreg_b32 s2, hwreg(HW_REG_IB_STS2, 6, 4)
	s_add_co_i32 s6, s6, s5
	s_cmp_eq_u32 s2, 0
	s_mov_b32 s17, 0
	s_cselect_b32 s16, s4, s6
	s_wait_kmcnt 0x0
	s_cmp_ge_u32 s16, s3
	s_cbranch_scc1 .LBB51_14
; %bb.1:
	s_clause 0x2
	s_load_b32 s4, s[0:1], 0x6c
	s_load_b64 s[18:19], s[0:1], 0x18
	s_load_b64 s[22:23], s[0:1], 0x38
	s_bfe_u32 s5, ttmp6, 0x4000c
	s_and_b32 s6, ttmp6, 15
	s_add_co_i32 s5, s5, 1
	v_and_b32_e32 v10, 0x3ff, v0
	s_mul_i32 s5, ttmp9, s5
	v_bfe_u32 v2, v0, 10, 10
	s_add_co_i32 s8, s6, s5
	s_load_b128 s[12:15], s[0:1], 0x8
	v_lshlrev_b32_e32 v16, 2, v10
	s_delay_alu instid0(VALU_DEP_2)
	v_lshlrev_b32_e32 v17, 8, v2
	s_wait_kmcnt 0x0
	s_and_b32 s21, s4, 0xffff
	s_cmp_eq_u32 s2, 0
	s_load_b128 s[4:7], s[0:1], 0x28
	s_cselect_b32 s2, ttmp9, s8
	s_clause 0x1
	s_load_b32 s20, s[0:1], 0x0
	s_load_b128 s[8:11], s[0:1], 0x48
	v_lshl_add_u32 v0, s2, 6, v10
	v_mov_b32_e32 v3, 0
	v_mad_u32_u24 v19, v2, s21, v10
	v_mul_u32_u24_e32 v18, s21, v2
	v_cmp_eq_u32_e64 s2, 0, v2
	v_ashrrev_i32_e32 v1, 31, v0
	v_mul_u64_e32 v[8:9], s[18:19], v[2:3]
	v_mul_u64_e32 v[12:13], s[22:23], v[2:3]
	s_wait_xcnt 0x0
	v_cmp_gt_u32_e64 s1, 64, v19
	s_lshl_b64 s[14:15], s[14:15], 2
	v_mad_nc_u64_u32 v[4:5], v0, s18, v[0:1]
	v_mul_u64_e32 v[6:7], s[22:23], v[0:1]
	v_lshlrev_b64_e32 v[10:11], 2, v[0:1]
	s_wait_kmcnt 0x0
	s_lshl_b64 s[6:7], s[6:7], 2
	v_cmp_gt_i32_e64 s0, s20, v0
	v_cmp_gt_i32_e32 vcc_lo, s20, v2
	v_mad_u32 v3, v1, s18, v5
	v_lshl_add_u32 v1, v18, 2, v16
	s_and_b32 s21, s2, s0
	s_delay_alu instid0(VALU_DEP_2)
	v_mad_u32 v5, v0, s19, v3
	v_add_nc_u32_e32 v3, v16, v17
	s_lshl_b64 s[18:19], s[18:19], 6
	v_lshl_add_u64 v[14:15], v[8:9], 2, s[14:15]
	v_add_nc_u64_e32 v[8:9], s[8:9], v[10:11]
	v_lshl_add_u64 v[12:13], v[12:13], 2, s[6:7]
	s_lshl_b64 s[8:9], s[22:23], 6
	s_delay_alu instid0(VALU_DEP_3)
	v_add_nc_u64_e32 v[10:11], v[14:15], v[10:11]
	s_branch .LBB51_3
.LBB51_2:                               ;   in Loop: Header=BB51_3 Depth=1
	s_wait_xcnt 0x0
	s_or_b32 exec_lo, exec_lo, s2
	s_add_co_i32 s16, s16, 0x10000
	s_delay_alu instid0(SALU_CYCLE_1)
	s_cmp_lt_u32 s16, s3
	s_cbranch_scc0 .LBB51_14
.LBB51_3:                               ; =>This Loop Header: Depth=1
                                        ;     Child Loop BB51_8 Depth 2
	v_mov_b32_e32 v18, s16
	s_clause 0x1
	global_load_b64 v[16:17], v18, s[12:13] scale_offset
	global_load_b64 v[14:15], v18, s[4:5] scale_offset
	s_wait_xcnt 0x0
	v_mov_b32_e32 v18, 0
	s_and_saveexec_b32 s2, s21
	s_cbranch_execz .LBB51_5
; %bb.4:                                ;   in Loop: Header=BB51_3 Depth=1
	s_wait_loadcnt 0x1
	v_add_nc_u64_e32 v[18:19], s[14:15], v[16:17]
	s_wait_loadcnt 0x0
	v_add_nc_u64_e32 v[20:21], s[6:7], v[14:15]
	s_delay_alu instid0(VALU_DEP_2) | instskip(NEXT) | instid1(VALU_DEP_2)
	v_lshl_add_u64 v[18:19], v[4:5], 2, v[18:19]
	v_lshl_add_u64 v[20:21], v[6:7], 2, v[20:21]
	flat_load_b32 v22, v[18:19]
	flat_load_b32 v23, v[20:21]
	s_wait_loadcnt_dscnt 0x0
	s_wait_xcnt 0x1
	v_mul_f32_e32 v18, v22, v23
.LBB51_5:                               ;   in Loop: Header=BB51_3 Depth=1
	s_wait_xcnt 0x0
	s_or_b32 exec_lo, exec_lo, s2
	s_and_saveexec_b32 s22, vcc_lo
	s_cbranch_execz .LBB51_11
; %bb.6:                                ;   in Loop: Header=BB51_3 Depth=1
	s_wait_loadcnt 0x0
	v_add_nc_u64_e32 v[14:15], v[14:15], v[12:13]
	v_add_nc_u64_e32 v[16:17], v[16:17], v[10:11]
	v_mov_b32_e32 v19, v2
	s_mov_b32 s23, 0
	s_branch .LBB51_8
.LBB51_7:                               ;   in Loop: Header=BB51_8 Depth=2
	s_wait_xcnt 0x0
	s_or_b32 exec_lo, exec_lo, s24
	v_add_nc_u32_e32 v19, 16, v19
	v_add_nc_u64_e32 v[14:15], s[8:9], v[14:15]
	v_add_nc_u64_e32 v[16:17], s[18:19], v[16:17]
	s_delay_alu instid0(VALU_DEP_3) | instskip(SKIP_1) | instid1(SALU_CYCLE_1)
	v_cmp_le_i32_e64 s2, s20, v19
	s_or_b32 s23, s2, s23
	s_and_not1_b32 exec_lo, exec_lo, s23
	s_cbranch_execz .LBB51_10
.LBB51_8:                               ;   Parent Loop BB51_3 Depth=1
                                        ; =>  This Inner Loop Header: Depth=2
	s_mov_b32 s24, exec_lo
	s_delay_alu instid0(VALU_DEP_1)
	v_cmpx_gt_i32_e64 v19, v0
	s_cbranch_execz .LBB51_7
; %bb.9:                                ;   in Loop: Header=BB51_8 Depth=2
	flat_load_b32 v20, v[16:17]
	flat_load_b32 v21, v[14:15]
	s_wait_loadcnt_dscnt 0x0
	v_fmac_f32_e32 v18, v20, v21
	s_branch .LBB51_7
.LBB51_10:                              ;   in Loop: Header=BB51_3 Depth=1
	s_or_b32 exec_lo, exec_lo, s23
.LBB51_11:                              ;   in Loop: Header=BB51_3 Depth=1
	s_delay_alu instid0(SALU_CYCLE_1)
	s_or_b32 exec_lo, exec_lo, s22
	ds_store_b32 v3, v18
	s_wait_loadcnt_dscnt 0x0
	s_barrier_signal -1
	s_barrier_wait -1
	s_and_saveexec_b32 s2, s1
	s_cbranch_execz .LBB51_2
; %bb.12:                               ;   in Loop: Header=BB51_3 Depth=1
	ds_load_2addr_stride64_b32 v[14:15], v1 offset1:1
	ds_load_2addr_stride64_b32 v[16:17], v1 offset0:2 offset1:3
	ds_load_2addr_stride64_b32 v[18:19], v1 offset0:4 offset1:5
	;; [unrolled: 1-line block ×3, first 2 shown]
	s_wait_dscnt 0x3
	v_add_f32_e32 v14, v14, v15
	s_wait_dscnt 0x2
	s_delay_alu instid0(VALU_DEP_1) | instskip(NEXT) | instid1(VALU_DEP_1)
	v_add_f32_e32 v14, v16, v14
	v_add_f32_e32 v14, v17, v14
	s_wait_dscnt 0x1
	s_delay_alu instid0(VALU_DEP_1) | instskip(SKIP_3) | instid1(VALU_DEP_1)
	v_add_f32_e32 v16, v18, v14
	ds_load_2addr_stride64_b32 v[14:15], v1 offset0:8 offset1:9
	v_add_f32_e32 v16, v19, v16
	s_wait_dscnt 0x1
	v_add_f32_e32 v18, v20, v16
	ds_load_2addr_stride64_b32 v[16:17], v1 offset0:10 offset1:11
	v_add_f32_e32 v22, v21, v18
	ds_load_2addr_stride64_b32 v[18:19], v1 offset0:12 offset1:13
	ds_load_2addr_stride64_b32 v[20:21], v1 offset0:14 offset1:15
	s_wait_dscnt 0x3
	v_add_f32_e32 v14, v14, v22
	s_delay_alu instid0(VALU_DEP_1) | instskip(SKIP_1) | instid1(VALU_DEP_1)
	v_add_f32_e32 v14, v15, v14
	s_wait_dscnt 0x2
	v_add_f32_e32 v14, v16, v14
	s_delay_alu instid0(VALU_DEP_1) | instskip(SKIP_1) | instid1(VALU_DEP_1)
	v_add_f32_e32 v14, v17, v14
	;; [unrolled: 4-line block ×3, first 2 shown]
	s_wait_dscnt 0x0
	v_add_f32_e32 v14, v20, v14
	s_delay_alu instid0(VALU_DEP_1)
	v_add_f32_e32 v14, v21, v14
	ds_store_b32 v1, v14
	s_and_b32 exec_lo, exec_lo, s0
	s_cbranch_execz .LBB51_2
; %bb.13:                               ;   in Loop: Header=BB51_3 Depth=1
	s_mul_u64 s[22:23], s[10:11], s[16:17]
	s_delay_alu instid0(SALU_CYCLE_1)
	v_lshl_add_u64 v[16:17], s[22:23], 2, v[8:9]
	global_store_b32 v[16:17], v14, off
	s_branch .LBB51_2
.LBB51_14:
	s_endpgm
	.section	.rodata,"a",@progbits
	.p2align	6, 0x0
	.amdhsa_kernel _ZL20rocblas_trmvn_kernelILi64ELi16ELb0ELb0EPKPKfPKPfS4_EviT3_lllT4_lllT5_li
		.amdhsa_group_segment_fixed_size 4096
		.amdhsa_private_segment_fixed_size 0
		.amdhsa_kernarg_size 352
		.amdhsa_user_sgpr_count 2
		.amdhsa_user_sgpr_dispatch_ptr 0
		.amdhsa_user_sgpr_queue_ptr 0
		.amdhsa_user_sgpr_kernarg_segment_ptr 1
		.amdhsa_user_sgpr_dispatch_id 0
		.amdhsa_user_sgpr_kernarg_preload_length 0
		.amdhsa_user_sgpr_kernarg_preload_offset 0
		.amdhsa_user_sgpr_private_segment_size 0
		.amdhsa_wavefront_size32 1
		.amdhsa_uses_dynamic_stack 0
		.amdhsa_enable_private_segment 0
		.amdhsa_system_sgpr_workgroup_id_x 1
		.amdhsa_system_sgpr_workgroup_id_y 0
		.amdhsa_system_sgpr_workgroup_id_z 1
		.amdhsa_system_sgpr_workgroup_info 0
		.amdhsa_system_vgpr_workitem_id 1
		.amdhsa_next_free_vgpr 24
		.amdhsa_next_free_sgpr 25
		.amdhsa_named_barrier_count 0
		.amdhsa_reserve_vcc 1
		.amdhsa_float_round_mode_32 0
		.amdhsa_float_round_mode_16_64 0
		.amdhsa_float_denorm_mode_32 3
		.amdhsa_float_denorm_mode_16_64 3
		.amdhsa_fp16_overflow 0
		.amdhsa_memory_ordered 1
		.amdhsa_forward_progress 1
		.amdhsa_inst_pref_size 8
		.amdhsa_round_robin_scheduling 0
		.amdhsa_exception_fp_ieee_invalid_op 0
		.amdhsa_exception_fp_denorm_src 0
		.amdhsa_exception_fp_ieee_div_zero 0
		.amdhsa_exception_fp_ieee_overflow 0
		.amdhsa_exception_fp_ieee_underflow 0
		.amdhsa_exception_fp_ieee_inexact 0
		.amdhsa_exception_int_div_zero 0
	.end_amdhsa_kernel
	.section	.text._ZL20rocblas_trmvn_kernelILi64ELi16ELb0ELb0EPKPKfPKPfS4_EviT3_lllT4_lllT5_li,"axG",@progbits,_ZL20rocblas_trmvn_kernelILi64ELi16ELb0ELb0EPKPKfPKPfS4_EviT3_lllT4_lllT5_li,comdat
.Lfunc_end51:
	.size	_ZL20rocblas_trmvn_kernelILi64ELi16ELb0ELb0EPKPKfPKPfS4_EviT3_lllT4_lllT5_li, .Lfunc_end51-_ZL20rocblas_trmvn_kernelILi64ELi16ELb0ELb0EPKPKfPKPfS4_EviT3_lllT4_lllT5_li
                                        ; -- End function
	.set _ZL20rocblas_trmvn_kernelILi64ELi16ELb0ELb0EPKPKfPKPfS4_EviT3_lllT4_lllT5_li.num_vgpr, 24
	.set _ZL20rocblas_trmvn_kernelILi64ELi16ELb0ELb0EPKPKfPKPfS4_EviT3_lllT4_lllT5_li.num_agpr, 0
	.set _ZL20rocblas_trmvn_kernelILi64ELi16ELb0ELb0EPKPKfPKPfS4_EviT3_lllT4_lllT5_li.numbered_sgpr, 25
	.set _ZL20rocblas_trmvn_kernelILi64ELi16ELb0ELb0EPKPKfPKPfS4_EviT3_lllT4_lllT5_li.num_named_barrier, 0
	.set _ZL20rocblas_trmvn_kernelILi64ELi16ELb0ELb0EPKPKfPKPfS4_EviT3_lllT4_lllT5_li.private_seg_size, 0
	.set _ZL20rocblas_trmvn_kernelILi64ELi16ELb0ELb0EPKPKfPKPfS4_EviT3_lllT4_lllT5_li.uses_vcc, 1
	.set _ZL20rocblas_trmvn_kernelILi64ELi16ELb0ELb0EPKPKfPKPfS4_EviT3_lllT4_lllT5_li.uses_flat_scratch, 0
	.set _ZL20rocblas_trmvn_kernelILi64ELi16ELb0ELb0EPKPKfPKPfS4_EviT3_lllT4_lllT5_li.has_dyn_sized_stack, 0
	.set _ZL20rocblas_trmvn_kernelILi64ELi16ELb0ELb0EPKPKfPKPfS4_EviT3_lllT4_lllT5_li.has_recursion, 0
	.set _ZL20rocblas_trmvn_kernelILi64ELi16ELb0ELb0EPKPKfPKPfS4_EviT3_lllT4_lllT5_li.has_indirect_call, 0
	.section	.AMDGPU.csdata,"",@progbits
; Kernel info:
; codeLenInByte = 936
; TotalNumSgprs: 27
; NumVgprs: 24
; ScratchSize: 0
; MemoryBound: 0
; FloatMode: 240
; IeeeMode: 1
; LDSByteSize: 4096 bytes/workgroup (compile time only)
; SGPRBlocks: 0
; VGPRBlocks: 1
; NumSGPRsForWavesPerEU: 27
; NumVGPRsForWavesPerEU: 24
; NamedBarCnt: 0
; Occupancy: 16
; WaveLimiterHint : 1
; COMPUTE_PGM_RSRC2:SCRATCH_EN: 0
; COMPUTE_PGM_RSRC2:USER_SGPR: 2
; COMPUTE_PGM_RSRC2:TRAP_HANDLER: 0
; COMPUTE_PGM_RSRC2:TGID_X_EN: 1
; COMPUTE_PGM_RSRC2:TGID_Y_EN: 0
; COMPUTE_PGM_RSRC2:TGID_Z_EN: 1
; COMPUTE_PGM_RSRC2:TIDIG_COMP_CNT: 1
	.section	.text._ZL20rocblas_trmvt_kernelILi512ELb0ELb0ELb0EPKPKfPKPfS4_EviT3_lllT4_lllT5_li,"axG",@progbits,_ZL20rocblas_trmvt_kernelILi512ELb0ELb0ELb0EPKPKfPKPfS4_EviT3_lllT4_lllT5_li,comdat
	.globl	_ZL20rocblas_trmvt_kernelILi512ELb0ELb0ELb0EPKPKfPKPfS4_EviT3_lllT4_lllT5_li ; -- Begin function _ZL20rocblas_trmvt_kernelILi512ELb0ELb0ELb0EPKPKfPKPfS4_EviT3_lllT4_lllT5_li
	.p2align	8
	.type	_ZL20rocblas_trmvt_kernelILi512ELb0ELb0ELb0EPKPKfPKPfS4_EviT3_lllT4_lllT5_li,@function
_ZL20rocblas_trmvt_kernelILi512ELb0ELb0ELb0EPKPKfPKPfS4_EviT3_lllT4_lllT5_li: ; @_ZL20rocblas_trmvt_kernelILi512ELb0ELb0ELb0EPKPKfPKPfS4_EviT3_lllT4_lllT5_li
; %bb.0:
	s_load_b32 s28, s[0:1], 0x58
	s_bfe_u32 s2, ttmp6, 0x40014
	s_lshr_b32 s4, ttmp7, 16
	s_add_co_i32 s2, s2, 1
	s_bfe_u32 s5, ttmp6, 0x40008
	s_mul_i32 s2, s4, s2
	s_getreg_b32 s3, hwreg(HW_REG_IB_STS2, 6, 4)
	s_add_co_i32 s5, s5, s2
	s_cmp_eq_u32 s3, 0
	s_mov_b32 s17, 0
	s_cselect_b32 s16, s4, s5
	s_wait_kmcnt 0x0
	s_cmp_ge_u32 s16, s28
	s_cbranch_scc1 .LBB52_21
; %bb.1:
	s_clause 0x4
	s_load_b64 s[24:25], s[0:1], 0x38
	s_load_b32 s29, s[0:1], 0x0
	s_load_b128 s[8:11], s[0:1], 0x8
	s_load_b64 s[20:21], s[0:1], 0x18
	s_load_b128 s[12:15], s[0:1], 0x28
	v_dual_mov_b32 v3, 0 :: v_dual_bitop2_b32 v2, 31, v0 bitop3:0x40
	v_mbcnt_lo_u32_b32 v6, -1, 0
	s_load_b128 s[4:7], s[0:1], 0x48
	s_wait_xcnt 0x0
	s_bfe_u32 s1, ttmp6, 0x4000c
	v_dual_mov_b32 v1, v3 :: v_dual_lshrrev_b32 v7, 3, v0
	s_add_co_i32 s2, s1, 1
	s_and_b32 s18, ttmp6, 15
	s_mul_i32 s19, ttmp9, s2
	v_cmp_gt_u32_e64 s2, 24, v6
	s_add_co_i32 s18, s18, s19
	s_cmp_eq_u32 s3, 0
	v_cmp_gt_u32_e64 s0, 32, v0
	s_cselect_b32 s18, ttmp9, s18
	s_wait_kmcnt 0x0
	v_mul_u64_e32 v[4:5], s[24:25], v[0:1]
	v_cndmask_b32_e64 v8, 0, 8, s2
	v_cmp_gt_u32_e64 s2, 28, v6
	v_cmp_gt_i32_e64 s3, s29, v0
	v_dual_lshlrev_b32 v1, 2, v2 :: v_dual_bitop2_b32 v11, 60, v7 bitop3:0x40
	s_lshl_b64 s[14:15], s[14:15], 2
	v_cndmask_b32_e64 v9, 0, 4, s2
	v_cmp_gt_u32_e64 s2, 30, v6
	s_ashr_i32 s19, s18, 31
	v_cmp_gt_u32_e64 s1, 16, v0
	v_lshl_or_b32 v10, v6, 2, 64
	v_add_lshl_u32 v12, v8, v6, 2
	v_cndmask_b32_e64 v14, 0, 2, s2
	v_cmp_ne_u32_e64 s2, 31, v6
	v_add_lshl_u32 v13, v9, v6, 2
	s_lshl_b64 s[22:23], s[18:19], 2
	s_mul_u64 s[26:27], s[24:25], s[18:19]
	v_add_lshl_u32 v14, v14, v6, 2
	v_add_co_ci_u32_e64 v15, null, 0, v6, s2
	v_cmp_eq_u32_e64 s2, 0, v2
	v_cndmask_b32_e64 v2, 0, v0, s3
	s_mul_u64 s[20:21], s[20:21], s[18:19]
	v_lshlrev_b32_e32 v15, 2, v15
	s_add_nc_u64 s[22:23], s[4:5], s[22:23]
	s_lshl_b64 s[24:25], s[24:25], 11
	v_lshlrev_b32_e32 v2, 2, v2
	s_lshl_b64 s[10:11], s[10:11], 2
	s_lshl_b64 s[26:27], s[26:27], 2
	v_cmp_eq_u32_e32 vcc_lo, 0, v0
	v_lshl_add_u64 v[4:5], v[4:5], 2, s[14:15]
	s_branch .LBB52_3
.LBB52_2:                               ;   in Loop: Header=BB52_3 Depth=1
	s_wait_xcnt 0x0
	s_or_b32 exec_lo, exec_lo, s4
	s_add_co_i32 s16, s16, 0x10000
	s_delay_alu instid0(SALU_CYCLE_1)
	s_cmp_lt_u32 s16, s28
	s_cbranch_scc0 .LBB52_21
.LBB52_3:                               ; =>This Loop Header: Depth=1
                                        ;     Child Loop BB52_15 Depth 2
	v_mov_b32_e32 v16, s16
	s_wait_dscnt 0x0
	s_clause 0x1
	global_load_b64 v[6:7], v16, s[8:9] scale_offset
	global_load_b64 v[8:9], v16, s[12:13] scale_offset
	s_wait_xcnt 0x0
	v_mov_b32_e32 v16, 0
	s_wait_loadcnt 0x1
	v_add_nc_u64_e32 v[6:7], s[10:11], v[6:7]
	s_delay_alu instid0(VALU_DEP_1) | instskip(NEXT) | instid1(VALU_DEP_1)
	v_add_nc_u64_e32 v[6:7], v[6:7], v[2:3]
	v_lshl_add_u64 v[6:7], s[20:21], 2, v[6:7]
	s_and_saveexec_b32 s4, vcc_lo
	s_cbranch_execnz .LBB52_12
; %bb.4:                                ;   in Loop: Header=BB52_3 Depth=1
	s_or_b32 exec_lo, exec_lo, s4
	s_and_saveexec_b32 s5, s3
	s_cbranch_execnz .LBB52_13
.LBB52_5:                               ;   in Loop: Header=BB52_3 Depth=1
	s_or_b32 exec_lo, exec_lo, s5
	s_and_saveexec_b32 s4, s0
.LBB52_6:                               ;   in Loop: Header=BB52_3 Depth=1
	ds_store_b32 v1, v3
.LBB52_7:                               ;   in Loop: Header=BB52_3 Depth=1
	s_or_b32 exec_lo, exec_lo, s4
	ds_bpermute_b32 v6, v10, v16
	s_wait_loadcnt_dscnt 0x0
	s_barrier_signal -1
	s_barrier_wait -1
	v_add_f32_e32 v6, v16, v6
	ds_bpermute_b32 v7, v12, v6
	s_wait_dscnt 0x0
	v_add_f32_e32 v6, v6, v7
	ds_bpermute_b32 v7, v13, v6
	s_wait_dscnt 0x0
	;; [unrolled: 3-line block ×3, first 2 shown]
	v_add_f32_e32 v6, v6, v7
	ds_bpermute_b32 v7, v15, v6
	s_and_saveexec_b32 s4, s2
	s_cbranch_execz .LBB52_9
; %bb.8:                                ;   in Loop: Header=BB52_3 Depth=1
	s_wait_dscnt 0x0
	v_add_f32_e32 v6, v6, v7
	ds_store_b32 v11, v6
.LBB52_9:                               ;   in Loop: Header=BB52_3 Depth=1
	s_or_b32 exec_lo, exec_lo, s4
	v_mov_b32_e32 v6, 0
	s_wait_dscnt 0x0
	s_barrier_signal -1
	s_barrier_wait -1
	s_and_saveexec_b32 s4, s1
	s_cbranch_execnz .LBB52_17
; %bb.10:                               ;   in Loop: Header=BB52_3 Depth=1
	s_or_b32 exec_lo, exec_lo, s4
	s_and_saveexec_b32 s4, s0
	s_cbranch_execnz .LBB52_18
.LBB52_11:                              ;   in Loop: Header=BB52_3 Depth=1
	s_or_b32 exec_lo, exec_lo, s4
	s_and_saveexec_b32 s4, vcc_lo
	s_cbranch_execz .LBB52_2
	s_branch .LBB52_19
.LBB52_12:                              ;   in Loop: Header=BB52_3 Depth=1
	s_wait_loadcnt 0x0
	v_add_nc_u64_e32 v[16:17], s[14:15], v[8:9]
	v_lshl_add_u64 v[18:19], s[18:19], 2, v[6:7]
	s_delay_alu instid0(VALU_DEP_2)
	v_add_nc_u64_e32 v[16:17], s[26:27], v[16:17]
	flat_load_b32 v20, v[18:19]
	flat_load_b32 v21, v[16:17]
	s_wait_loadcnt_dscnt 0x0
	s_wait_xcnt 0x0
	v_fma_f32 v16, v20, v21, 0
	s_or_b32 exec_lo, exec_lo, s4
	s_and_saveexec_b32 s5, s3
	s_cbranch_execz .LBB52_5
.LBB52_13:                              ;   in Loop: Header=BB52_3 Depth=1
	s_wait_loadcnt 0x0
	v_add_nc_u64_e32 v[8:9], v[8:9], v[4:5]
	v_mov_b32_e32 v17, v0
	s_mov_b32 s30, 0
	s_branch .LBB52_15
.LBB52_14:                              ;   in Loop: Header=BB52_15 Depth=2
	s_wait_xcnt 0x0
	s_or_b32 exec_lo, exec_lo, s31
	v_add_nc_u32_e32 v17, 0x200, v17
	v_add_nc_u64_e32 v[6:7], 0x800, v[6:7]
	v_add_nc_u64_e32 v[8:9], s[24:25], v[8:9]
	s_delay_alu instid0(VALU_DEP_3) | instskip(SKIP_1) | instid1(SALU_CYCLE_1)
	v_cmp_le_i32_e64 s4, s29, v17
	s_or_b32 s30, s4, s30
	s_and_not1_b32 exec_lo, exec_lo, s30
	s_cbranch_execz .LBB52_20
.LBB52_15:                              ;   Parent Loop BB52_3 Depth=1
                                        ; =>  This Inner Loop Header: Depth=2
	s_mov_b32 s31, exec_lo
	s_delay_alu instid0(VALU_DEP_1)
	v_cmpx_gt_i32_e64 s18, v17
	s_cbranch_execz .LBB52_14
; %bb.16:                               ;   in Loop: Header=BB52_15 Depth=2
	flat_load_b32 v18, v[6:7]
	flat_load_b32 v19, v[8:9]
	s_wait_loadcnt_dscnt 0x0
	v_fmac_f32_e32 v16, v18, v19
	s_branch .LBB52_14
.LBB52_17:                              ;   in Loop: Header=BB52_3 Depth=1
	ds_load_b32 v6, v1
	s_or_b32 exec_lo, exec_lo, s4
	s_and_saveexec_b32 s4, s0
	s_cbranch_execz .LBB52_11
.LBB52_18:                              ;   in Loop: Header=BB52_3 Depth=1
	s_wait_dscnt 0x0
	ds_bpermute_b32 v7, v12, v6
	s_wait_dscnt 0x0
	v_add_f32_e32 v6, v6, v7
	ds_bpermute_b32 v7, v13, v6
	s_wait_dscnt 0x0
	v_add_f32_e32 v6, v6, v7
	;; [unrolled: 3-line block ×4, first 2 shown]
	s_or_b32 exec_lo, exec_lo, s4
	s_and_saveexec_b32 s4, vcc_lo
	s_cbranch_execz .LBB52_2
.LBB52_19:                              ;   in Loop: Header=BB52_3 Depth=1
	s_mul_u64 s[30:31], s[6:7], s[16:17]
	s_delay_alu instid0(SALU_CYCLE_1) | instskip(NEXT) | instid1(SALU_CYCLE_1)
	s_lshl_b64 s[30:31], s[30:31], 2
	s_add_nc_u64 s[30:31], s[22:23], s[30:31]
	s_wait_dscnt 0x0
	global_store_b32 v3, v6, s[30:31]
	s_branch .LBB52_2
.LBB52_20:                              ;   in Loop: Header=BB52_3 Depth=1
	s_or_b32 exec_lo, exec_lo, s30
	s_delay_alu instid0(SALU_CYCLE_1)
	s_or_b32 exec_lo, exec_lo, s5
	s_and_saveexec_b32 s4, s0
	s_cbranch_execnz .LBB52_6
	s_branch .LBB52_7
.LBB52_21:
	s_endpgm
	.section	.rodata,"a",@progbits
	.p2align	6, 0x0
	.amdhsa_kernel _ZL20rocblas_trmvt_kernelILi512ELb0ELb0ELb0EPKPKfPKPfS4_EviT3_lllT4_lllT5_li
		.amdhsa_group_segment_fixed_size 128
		.amdhsa_private_segment_fixed_size 0
		.amdhsa_kernarg_size 92
		.amdhsa_user_sgpr_count 2
		.amdhsa_user_sgpr_dispatch_ptr 0
		.amdhsa_user_sgpr_queue_ptr 0
		.amdhsa_user_sgpr_kernarg_segment_ptr 1
		.amdhsa_user_sgpr_dispatch_id 0
		.amdhsa_user_sgpr_kernarg_preload_length 0
		.amdhsa_user_sgpr_kernarg_preload_offset 0
		.amdhsa_user_sgpr_private_segment_size 0
		.amdhsa_wavefront_size32 1
		.amdhsa_uses_dynamic_stack 0
		.amdhsa_enable_private_segment 0
		.amdhsa_system_sgpr_workgroup_id_x 1
		.amdhsa_system_sgpr_workgroup_id_y 0
		.amdhsa_system_sgpr_workgroup_id_z 1
		.amdhsa_system_sgpr_workgroup_info 0
		.amdhsa_system_vgpr_workitem_id 0
		.amdhsa_next_free_vgpr 22
		.amdhsa_next_free_sgpr 32
		.amdhsa_named_barrier_count 0
		.amdhsa_reserve_vcc 1
		.amdhsa_float_round_mode_32 0
		.amdhsa_float_round_mode_16_64 0
		.amdhsa_float_denorm_mode_32 3
		.amdhsa_float_denorm_mode_16_64 3
		.amdhsa_fp16_overflow 0
		.amdhsa_memory_ordered 1
		.amdhsa_forward_progress 1
		.amdhsa_inst_pref_size 9
		.amdhsa_round_robin_scheduling 0
		.amdhsa_exception_fp_ieee_invalid_op 0
		.amdhsa_exception_fp_denorm_src 0
		.amdhsa_exception_fp_ieee_div_zero 0
		.amdhsa_exception_fp_ieee_overflow 0
		.amdhsa_exception_fp_ieee_underflow 0
		.amdhsa_exception_fp_ieee_inexact 0
		.amdhsa_exception_int_div_zero 0
	.end_amdhsa_kernel
	.section	.text._ZL20rocblas_trmvt_kernelILi512ELb0ELb0ELb0EPKPKfPKPfS4_EviT3_lllT4_lllT5_li,"axG",@progbits,_ZL20rocblas_trmvt_kernelILi512ELb0ELb0ELb0EPKPKfPKPfS4_EviT3_lllT4_lllT5_li,comdat
.Lfunc_end52:
	.size	_ZL20rocblas_trmvt_kernelILi512ELb0ELb0ELb0EPKPKfPKPfS4_EviT3_lllT4_lllT5_li, .Lfunc_end52-_ZL20rocblas_trmvt_kernelILi512ELb0ELb0ELb0EPKPKfPKPfS4_EviT3_lllT4_lllT5_li
                                        ; -- End function
	.set _ZL20rocblas_trmvt_kernelILi512ELb0ELb0ELb0EPKPKfPKPfS4_EviT3_lllT4_lllT5_li.num_vgpr, 22
	.set _ZL20rocblas_trmvt_kernelILi512ELb0ELb0ELb0EPKPKfPKPfS4_EviT3_lllT4_lllT5_li.num_agpr, 0
	.set _ZL20rocblas_trmvt_kernelILi512ELb0ELb0ELb0EPKPKfPKPfS4_EviT3_lllT4_lllT5_li.numbered_sgpr, 32
	.set _ZL20rocblas_trmvt_kernelILi512ELb0ELb0ELb0EPKPKfPKPfS4_EviT3_lllT4_lllT5_li.num_named_barrier, 0
	.set _ZL20rocblas_trmvt_kernelILi512ELb0ELb0ELb0EPKPKfPKPfS4_EviT3_lllT4_lllT5_li.private_seg_size, 0
	.set _ZL20rocblas_trmvt_kernelILi512ELb0ELb0ELb0EPKPKfPKPfS4_EviT3_lllT4_lllT5_li.uses_vcc, 1
	.set _ZL20rocblas_trmvt_kernelILi512ELb0ELb0ELb0EPKPKfPKPfS4_EviT3_lllT4_lllT5_li.uses_flat_scratch, 0
	.set _ZL20rocblas_trmvt_kernelILi512ELb0ELb0ELb0EPKPKfPKPfS4_EviT3_lllT4_lllT5_li.has_dyn_sized_stack, 0
	.set _ZL20rocblas_trmvt_kernelILi512ELb0ELb0ELb0EPKPKfPKPfS4_EviT3_lllT4_lllT5_li.has_recursion, 0
	.set _ZL20rocblas_trmvt_kernelILi512ELb0ELb0ELb0EPKPKfPKPfS4_EviT3_lllT4_lllT5_li.has_indirect_call, 0
	.section	.AMDGPU.csdata,"",@progbits
; Kernel info:
; codeLenInByte = 1068
; TotalNumSgprs: 34
; NumVgprs: 22
; ScratchSize: 0
; MemoryBound: 0
; FloatMode: 240
; IeeeMode: 1
; LDSByteSize: 128 bytes/workgroup (compile time only)
; SGPRBlocks: 0
; VGPRBlocks: 1
; NumSGPRsForWavesPerEU: 34
; NumVGPRsForWavesPerEU: 22
; NamedBarCnt: 0
; Occupancy: 16
; WaveLimiterHint : 1
; COMPUTE_PGM_RSRC2:SCRATCH_EN: 0
; COMPUTE_PGM_RSRC2:USER_SGPR: 2
; COMPUTE_PGM_RSRC2:TRAP_HANDLER: 0
; COMPUTE_PGM_RSRC2:TGID_X_EN: 1
; COMPUTE_PGM_RSRC2:TGID_Y_EN: 0
; COMPUTE_PGM_RSRC2:TGID_Z_EN: 1
; COMPUTE_PGM_RSRC2:TIDIG_COMP_CNT: 0
	.section	.text._ZL20rocblas_trmvt_kernelILi512ELb0ELb1ELb0EPKPKfPKPfS4_EviT3_lllT4_lllT5_li,"axG",@progbits,_ZL20rocblas_trmvt_kernelILi512ELb0ELb1ELb0EPKPKfPKPfS4_EviT3_lllT4_lllT5_li,comdat
	.globl	_ZL20rocblas_trmvt_kernelILi512ELb0ELb1ELb0EPKPKfPKPfS4_EviT3_lllT4_lllT5_li ; -- Begin function _ZL20rocblas_trmvt_kernelILi512ELb0ELb1ELb0EPKPKfPKPfS4_EviT3_lllT4_lllT5_li
	.p2align	8
	.type	_ZL20rocblas_trmvt_kernelILi512ELb0ELb1ELb0EPKPKfPKPfS4_EviT3_lllT4_lllT5_li,@function
_ZL20rocblas_trmvt_kernelILi512ELb0ELb1ELb0EPKPKfPKPfS4_EviT3_lllT4_lllT5_li: ; @_ZL20rocblas_trmvt_kernelILi512ELb0ELb1ELb0EPKPKfPKPfS4_EviT3_lllT4_lllT5_li
; %bb.0:
	s_load_b32 s28, s[0:1], 0x58
	s_bfe_u32 s2, ttmp6, 0x40014
	s_lshr_b32 s4, ttmp7, 16
	s_add_co_i32 s2, s2, 1
	s_bfe_u32 s5, ttmp6, 0x40008
	s_mul_i32 s2, s4, s2
	s_getreg_b32 s3, hwreg(HW_REG_IB_STS2, 6, 4)
	s_add_co_i32 s5, s5, s2
	s_cmp_eq_u32 s3, 0
	s_mov_b32 s17, 0
	s_cselect_b32 s16, s4, s5
	s_wait_kmcnt 0x0
	s_cmp_ge_u32 s16, s28
	s_cbranch_scc1 .LBB53_21
; %bb.1:
	s_clause 0x4
	s_load_b64 s[24:25], s[0:1], 0x38
	s_load_b32 s29, s[0:1], 0x0
	s_load_b128 s[8:11], s[0:1], 0x8
	s_load_b64 s[20:21], s[0:1], 0x18
	s_load_b128 s[12:15], s[0:1], 0x28
	v_dual_mov_b32 v3, 0 :: v_dual_bitop2_b32 v2, 31, v0 bitop3:0x40
	v_mbcnt_lo_u32_b32 v6, -1, 0
	s_load_b128 s[4:7], s[0:1], 0x48
	s_wait_xcnt 0x0
	s_bfe_u32 s1, ttmp6, 0x4000c
	v_dual_mov_b32 v1, v3 :: v_dual_lshrrev_b32 v7, 3, v0
	s_add_co_i32 s2, s1, 1
	s_and_b32 s18, ttmp6, 15
	s_mul_i32 s19, ttmp9, s2
	v_cmp_gt_u32_e64 s2, 24, v6
	s_add_co_i32 s18, s18, s19
	s_cmp_eq_u32 s3, 0
	v_cmp_gt_u32_e64 s0, 32, v0
	s_cselect_b32 s18, ttmp9, s18
	s_wait_kmcnt 0x0
	v_mul_u64_e32 v[4:5], s[24:25], v[0:1]
	v_cndmask_b32_e64 v8, 0, 8, s2
	v_cmp_gt_u32_e64 s2, 28, v6
	v_cmp_gt_i32_e64 s3, s29, v0
	v_dual_lshlrev_b32 v1, 2, v2 :: v_dual_bitop2_b32 v11, 60, v7 bitop3:0x40
	s_lshl_b64 s[14:15], s[14:15], 2
	v_cndmask_b32_e64 v9, 0, 4, s2
	v_cmp_gt_u32_e64 s2, 30, v6
	s_ashr_i32 s19, s18, 31
	v_cmp_gt_u32_e64 s1, 16, v0
	v_lshl_or_b32 v10, v6, 2, 64
	v_add_lshl_u32 v12, v8, v6, 2
	v_cndmask_b32_e64 v14, 0, 2, s2
	v_cmp_ne_u32_e64 s2, 31, v6
	v_add_lshl_u32 v13, v9, v6, 2
	s_lshl_b64 s[22:23], s[18:19], 2
	s_mul_u64 s[26:27], s[24:25], s[18:19]
	v_add_lshl_u32 v14, v14, v6, 2
	v_add_co_ci_u32_e64 v15, null, 0, v6, s2
	v_cmp_eq_u32_e64 s2, 0, v2
	v_cndmask_b32_e64 v2, 0, v0, s3
	s_mul_u64 s[20:21], s[20:21], s[18:19]
	v_lshlrev_b32_e32 v15, 2, v15
	s_add_nc_u64 s[22:23], s[4:5], s[22:23]
	s_lshl_b64 s[24:25], s[24:25], 11
	v_lshlrev_b32_e32 v2, 2, v2
	s_lshl_b64 s[10:11], s[10:11], 2
	s_lshl_b64 s[26:27], s[26:27], 2
	v_cmp_eq_u32_e32 vcc_lo, 0, v0
	v_lshl_add_u64 v[4:5], v[4:5], 2, s[14:15]
	s_branch .LBB53_3
.LBB53_2:                               ;   in Loop: Header=BB53_3 Depth=1
	s_wait_xcnt 0x0
	s_or_b32 exec_lo, exec_lo, s4
	s_add_co_i32 s16, s16, 0x10000
	s_delay_alu instid0(SALU_CYCLE_1)
	s_cmp_lt_u32 s16, s28
	s_cbranch_scc0 .LBB53_21
.LBB53_3:                               ; =>This Loop Header: Depth=1
                                        ;     Child Loop BB53_15 Depth 2
	v_mov_b32_e32 v16, s16
	s_wait_dscnt 0x0
	s_clause 0x1
	global_load_b64 v[6:7], v16, s[8:9] scale_offset
	global_load_b64 v[8:9], v16, s[12:13] scale_offset
	s_wait_xcnt 0x0
	v_mov_b32_e32 v16, 0
	s_wait_loadcnt 0x1
	v_add_nc_u64_e32 v[6:7], s[10:11], v[6:7]
	s_delay_alu instid0(VALU_DEP_1) | instskip(NEXT) | instid1(VALU_DEP_1)
	v_add_nc_u64_e32 v[6:7], v[6:7], v[2:3]
	v_lshl_add_u64 v[6:7], s[20:21], 2, v[6:7]
	s_and_saveexec_b32 s4, vcc_lo
	s_cbranch_execnz .LBB53_12
; %bb.4:                                ;   in Loop: Header=BB53_3 Depth=1
	s_or_b32 exec_lo, exec_lo, s4
	s_and_saveexec_b32 s5, s3
	s_cbranch_execnz .LBB53_13
.LBB53_5:                               ;   in Loop: Header=BB53_3 Depth=1
	s_or_b32 exec_lo, exec_lo, s5
	s_and_saveexec_b32 s4, s0
.LBB53_6:                               ;   in Loop: Header=BB53_3 Depth=1
	ds_store_b32 v1, v3
.LBB53_7:                               ;   in Loop: Header=BB53_3 Depth=1
	s_or_b32 exec_lo, exec_lo, s4
	ds_bpermute_b32 v6, v10, v16
	s_wait_loadcnt_dscnt 0x0
	s_barrier_signal -1
	s_barrier_wait -1
	v_add_f32_e32 v6, v16, v6
	ds_bpermute_b32 v7, v12, v6
	s_wait_dscnt 0x0
	v_add_f32_e32 v6, v6, v7
	ds_bpermute_b32 v7, v13, v6
	s_wait_dscnt 0x0
	;; [unrolled: 3-line block ×3, first 2 shown]
	v_add_f32_e32 v6, v6, v7
	ds_bpermute_b32 v7, v15, v6
	s_and_saveexec_b32 s4, s2
	s_cbranch_execz .LBB53_9
; %bb.8:                                ;   in Loop: Header=BB53_3 Depth=1
	s_wait_dscnt 0x0
	v_add_f32_e32 v6, v6, v7
	ds_store_b32 v11, v6
.LBB53_9:                               ;   in Loop: Header=BB53_3 Depth=1
	s_or_b32 exec_lo, exec_lo, s4
	v_mov_b32_e32 v6, 0
	s_wait_dscnt 0x0
	s_barrier_signal -1
	s_barrier_wait -1
	s_and_saveexec_b32 s4, s1
	s_cbranch_execnz .LBB53_17
; %bb.10:                               ;   in Loop: Header=BB53_3 Depth=1
	s_or_b32 exec_lo, exec_lo, s4
	s_and_saveexec_b32 s4, s0
	s_cbranch_execnz .LBB53_18
.LBB53_11:                              ;   in Loop: Header=BB53_3 Depth=1
	s_or_b32 exec_lo, exec_lo, s4
	s_and_saveexec_b32 s4, vcc_lo
	s_cbranch_execz .LBB53_2
	s_branch .LBB53_19
.LBB53_12:                              ;   in Loop: Header=BB53_3 Depth=1
	s_wait_loadcnt 0x0
	v_add_nc_u64_e32 v[16:17], s[14:15], v[8:9]
	v_lshl_add_u64 v[18:19], s[18:19], 2, v[6:7]
	s_delay_alu instid0(VALU_DEP_2)
	v_add_nc_u64_e32 v[16:17], s[26:27], v[16:17]
	flat_load_b32 v20, v[18:19]
	flat_load_b32 v21, v[16:17]
	s_wait_loadcnt_dscnt 0x0
	s_wait_xcnt 0x0
	v_fma_f32 v16, v20, v21, 0
	s_or_b32 exec_lo, exec_lo, s4
	s_and_saveexec_b32 s5, s3
	s_cbranch_execz .LBB53_5
.LBB53_13:                              ;   in Loop: Header=BB53_3 Depth=1
	s_wait_loadcnt 0x0
	v_add_nc_u64_e32 v[8:9], v[8:9], v[4:5]
	v_mov_b32_e32 v17, v0
	s_mov_b32 s30, 0
	s_branch .LBB53_15
.LBB53_14:                              ;   in Loop: Header=BB53_15 Depth=2
	s_wait_xcnt 0x0
	s_or_b32 exec_lo, exec_lo, s31
	v_add_nc_u32_e32 v17, 0x200, v17
	v_add_nc_u64_e32 v[6:7], 0x800, v[6:7]
	v_add_nc_u64_e32 v[8:9], s[24:25], v[8:9]
	s_delay_alu instid0(VALU_DEP_3) | instskip(SKIP_1) | instid1(SALU_CYCLE_1)
	v_cmp_le_i32_e64 s4, s29, v17
	s_or_b32 s30, s4, s30
	s_and_not1_b32 exec_lo, exec_lo, s30
	s_cbranch_execz .LBB53_20
.LBB53_15:                              ;   Parent Loop BB53_3 Depth=1
                                        ; =>  This Inner Loop Header: Depth=2
	s_mov_b32 s31, exec_lo
	s_delay_alu instid0(VALU_DEP_1)
	v_cmpx_gt_i32_e64 s18, v17
	s_cbranch_execz .LBB53_14
; %bb.16:                               ;   in Loop: Header=BB53_15 Depth=2
	flat_load_b32 v18, v[6:7]
	flat_load_b32 v19, v[8:9]
	s_wait_loadcnt_dscnt 0x0
	v_fmac_f32_e32 v16, v18, v19
	s_branch .LBB53_14
.LBB53_17:                              ;   in Loop: Header=BB53_3 Depth=1
	ds_load_b32 v6, v1
	s_or_b32 exec_lo, exec_lo, s4
	s_and_saveexec_b32 s4, s0
	s_cbranch_execz .LBB53_11
.LBB53_18:                              ;   in Loop: Header=BB53_3 Depth=1
	s_wait_dscnt 0x0
	ds_bpermute_b32 v7, v12, v6
	s_wait_dscnt 0x0
	v_add_f32_e32 v6, v6, v7
	ds_bpermute_b32 v7, v13, v6
	s_wait_dscnt 0x0
	v_add_f32_e32 v6, v6, v7
	;; [unrolled: 3-line block ×4, first 2 shown]
	s_or_b32 exec_lo, exec_lo, s4
	s_and_saveexec_b32 s4, vcc_lo
	s_cbranch_execz .LBB53_2
.LBB53_19:                              ;   in Loop: Header=BB53_3 Depth=1
	s_mul_u64 s[30:31], s[6:7], s[16:17]
	s_delay_alu instid0(SALU_CYCLE_1) | instskip(NEXT) | instid1(SALU_CYCLE_1)
	s_lshl_b64 s[30:31], s[30:31], 2
	s_add_nc_u64 s[30:31], s[22:23], s[30:31]
	s_wait_dscnt 0x0
	global_store_b32 v3, v6, s[30:31]
	s_branch .LBB53_2
.LBB53_20:                              ;   in Loop: Header=BB53_3 Depth=1
	s_or_b32 exec_lo, exec_lo, s30
	s_delay_alu instid0(SALU_CYCLE_1)
	s_or_b32 exec_lo, exec_lo, s5
	s_and_saveexec_b32 s4, s0
	s_cbranch_execnz .LBB53_6
	s_branch .LBB53_7
.LBB53_21:
	s_endpgm
	.section	.rodata,"a",@progbits
	.p2align	6, 0x0
	.amdhsa_kernel _ZL20rocblas_trmvt_kernelILi512ELb0ELb1ELb0EPKPKfPKPfS4_EviT3_lllT4_lllT5_li
		.amdhsa_group_segment_fixed_size 128
		.amdhsa_private_segment_fixed_size 0
		.amdhsa_kernarg_size 92
		.amdhsa_user_sgpr_count 2
		.amdhsa_user_sgpr_dispatch_ptr 0
		.amdhsa_user_sgpr_queue_ptr 0
		.amdhsa_user_sgpr_kernarg_segment_ptr 1
		.amdhsa_user_sgpr_dispatch_id 0
		.amdhsa_user_sgpr_kernarg_preload_length 0
		.amdhsa_user_sgpr_kernarg_preload_offset 0
		.amdhsa_user_sgpr_private_segment_size 0
		.amdhsa_wavefront_size32 1
		.amdhsa_uses_dynamic_stack 0
		.amdhsa_enable_private_segment 0
		.amdhsa_system_sgpr_workgroup_id_x 1
		.amdhsa_system_sgpr_workgroup_id_y 0
		.amdhsa_system_sgpr_workgroup_id_z 1
		.amdhsa_system_sgpr_workgroup_info 0
		.amdhsa_system_vgpr_workitem_id 0
		.amdhsa_next_free_vgpr 22
		.amdhsa_next_free_sgpr 32
		.amdhsa_named_barrier_count 0
		.amdhsa_reserve_vcc 1
		.amdhsa_float_round_mode_32 0
		.amdhsa_float_round_mode_16_64 0
		.amdhsa_float_denorm_mode_32 3
		.amdhsa_float_denorm_mode_16_64 3
		.amdhsa_fp16_overflow 0
		.amdhsa_memory_ordered 1
		.amdhsa_forward_progress 1
		.amdhsa_inst_pref_size 9
		.amdhsa_round_robin_scheduling 0
		.amdhsa_exception_fp_ieee_invalid_op 0
		.amdhsa_exception_fp_denorm_src 0
		.amdhsa_exception_fp_ieee_div_zero 0
		.amdhsa_exception_fp_ieee_overflow 0
		.amdhsa_exception_fp_ieee_underflow 0
		.amdhsa_exception_fp_ieee_inexact 0
		.amdhsa_exception_int_div_zero 0
	.end_amdhsa_kernel
	.section	.text._ZL20rocblas_trmvt_kernelILi512ELb0ELb1ELb0EPKPKfPKPfS4_EviT3_lllT4_lllT5_li,"axG",@progbits,_ZL20rocblas_trmvt_kernelILi512ELb0ELb1ELb0EPKPKfPKPfS4_EviT3_lllT4_lllT5_li,comdat
.Lfunc_end53:
	.size	_ZL20rocblas_trmvt_kernelILi512ELb0ELb1ELb0EPKPKfPKPfS4_EviT3_lllT4_lllT5_li, .Lfunc_end53-_ZL20rocblas_trmvt_kernelILi512ELb0ELb1ELb0EPKPKfPKPfS4_EviT3_lllT4_lllT5_li
                                        ; -- End function
	.set _ZL20rocblas_trmvt_kernelILi512ELb0ELb1ELb0EPKPKfPKPfS4_EviT3_lllT4_lllT5_li.num_vgpr, 22
	.set _ZL20rocblas_trmvt_kernelILi512ELb0ELb1ELb0EPKPKfPKPfS4_EviT3_lllT4_lllT5_li.num_agpr, 0
	.set _ZL20rocblas_trmvt_kernelILi512ELb0ELb1ELb0EPKPKfPKPfS4_EviT3_lllT4_lllT5_li.numbered_sgpr, 32
	.set _ZL20rocblas_trmvt_kernelILi512ELb0ELb1ELb0EPKPKfPKPfS4_EviT3_lllT4_lllT5_li.num_named_barrier, 0
	.set _ZL20rocblas_trmvt_kernelILi512ELb0ELb1ELb0EPKPKfPKPfS4_EviT3_lllT4_lllT5_li.private_seg_size, 0
	.set _ZL20rocblas_trmvt_kernelILi512ELb0ELb1ELb0EPKPKfPKPfS4_EviT3_lllT4_lllT5_li.uses_vcc, 1
	.set _ZL20rocblas_trmvt_kernelILi512ELb0ELb1ELb0EPKPKfPKPfS4_EviT3_lllT4_lllT5_li.uses_flat_scratch, 0
	.set _ZL20rocblas_trmvt_kernelILi512ELb0ELb1ELb0EPKPKfPKPfS4_EviT3_lllT4_lllT5_li.has_dyn_sized_stack, 0
	.set _ZL20rocblas_trmvt_kernelILi512ELb0ELb1ELb0EPKPKfPKPfS4_EviT3_lllT4_lllT5_li.has_recursion, 0
	.set _ZL20rocblas_trmvt_kernelILi512ELb0ELb1ELb0EPKPKfPKPfS4_EviT3_lllT4_lllT5_li.has_indirect_call, 0
	.section	.AMDGPU.csdata,"",@progbits
; Kernel info:
; codeLenInByte = 1068
; TotalNumSgprs: 34
; NumVgprs: 22
; ScratchSize: 0
; MemoryBound: 0
; FloatMode: 240
; IeeeMode: 1
; LDSByteSize: 128 bytes/workgroup (compile time only)
; SGPRBlocks: 0
; VGPRBlocks: 1
; NumSGPRsForWavesPerEU: 34
; NumVGPRsForWavesPerEU: 22
; NamedBarCnt: 0
; Occupancy: 16
; WaveLimiterHint : 1
; COMPUTE_PGM_RSRC2:SCRATCH_EN: 0
; COMPUTE_PGM_RSRC2:USER_SGPR: 2
; COMPUTE_PGM_RSRC2:TRAP_HANDLER: 0
; COMPUTE_PGM_RSRC2:TGID_X_EN: 1
; COMPUTE_PGM_RSRC2:TGID_Y_EN: 0
; COMPUTE_PGM_RSRC2:TGID_Z_EN: 1
; COMPUTE_PGM_RSRC2:TIDIG_COMP_CNT: 0
	.section	.text._ZL20rocblas_trmvn_kernelILi64ELi16ELb1ELb1EPKPKfPKPfS4_EviT3_lllT4_lllT5_li,"axG",@progbits,_ZL20rocblas_trmvn_kernelILi64ELi16ELb1ELb1EPKPKfPKPfS4_EviT3_lllT4_lllT5_li,comdat
	.globl	_ZL20rocblas_trmvn_kernelILi64ELi16ELb1ELb1EPKPKfPKPfS4_EviT3_lllT4_lllT5_li ; -- Begin function _ZL20rocblas_trmvn_kernelILi64ELi16ELb1ELb1EPKPKfPKPfS4_EviT3_lllT4_lllT5_li
	.p2align	8
	.type	_ZL20rocblas_trmvn_kernelILi64ELi16ELb1ELb1EPKPKfPKPfS4_EviT3_lllT4_lllT5_li,@function
_ZL20rocblas_trmvn_kernelILi64ELi16ELb1ELb1EPKPKfPKPfS4_EviT3_lllT4_lllT5_li: ; @_ZL20rocblas_trmvn_kernelILi64ELi16ELb1ELb1EPKPKfPKPfS4_EviT3_lllT4_lllT5_li
; %bb.0:
	s_load_b32 s3, s[0:1], 0x58
	s_bfe_u32 s2, ttmp6, 0x40014
	s_lshr_b32 s4, ttmp7, 16
	s_add_co_i32 s2, s2, 1
	s_bfe_u32 s6, ttmp6, 0x40008
	s_mul_i32 s5, s4, s2
	s_getreg_b32 s2, hwreg(HW_REG_IB_STS2, 6, 4)
	s_add_co_i32 s6, s6, s5
	s_cmp_eq_u32 s2, 0
	s_mov_b32 s17, 0
	s_cselect_b32 s16, s4, s6
	s_wait_kmcnt 0x0
	s_cmp_ge_u32 s16, s3
	s_cbranch_scc1 .LBB54_14
; %bb.1:
	s_clause 0x2
	s_load_b32 s4, s[0:1], 0x6c
	s_load_b64 s[20:21], s[0:1], 0x18
	s_load_b64 s[22:23], s[0:1], 0x38
	s_bfe_u32 s5, ttmp6, 0x4000c
	s_and_b32 s6, ttmp6, 15
	s_add_co_i32 s5, s5, 1
	v_and_b32_e32 v12, 0x3ff, v0
	s_mul_i32 s5, ttmp9, s5
	v_bfe_u32 v2, v0, 10, 10
	s_add_co_i32 s8, s6, s5
	s_load_b128 s[12:15], s[0:1], 0x8
	s_delay_alu instid0(VALU_DEP_1)
	v_dual_lshlrev_b32 v15, 2, v12 :: v_dual_lshlrev_b32 v16, 8, v2
	s_wait_kmcnt 0x0
	s_and_b32 s19, s4, 0xffff
	s_cmp_eq_u32 s2, 0
	s_load_b128 s[4:7], s[0:1], 0x28
	s_cselect_b32 s2, ttmp9, s8
	s_clause 0x1
	s_load_b32 s18, s[0:1], 0x0
	s_load_b128 s[8:11], s[0:1], 0x48
	v_lshl_add_u32 v0, s2, 6, v12
	v_mov_b32_e32 v3, 0
	v_mad_u32_u24 v14, v2, s19, v12
	v_cmp_eq_u32_e64 s2, 0, v2
	s_delay_alu instid0(VALU_DEP_4) | instskip(NEXT) | instid1(VALU_DEP_4)
	v_ashrrev_i32_e32 v1, 31, v0
	v_mul_u64_e32 v[6:7], s[20:21], v[2:3]
	v_mul_u64_e32 v[10:11], s[22:23], v[2:3]
	v_mul_u32_u24_e32 v3, s19, v2
	s_wait_xcnt 0x0
	v_cmp_gt_u32_e64 s1, 64, v14
	v_mul_u64_e32 v[4:5], s[22:23], v[0:1]
	v_lshlrev_b64_e32 v[8:9], 2, v[0:1]
	s_lshl_b64 s[14:15], s[14:15], 2
	v_lshl_add_u32 v1, v3, 2, v15
	v_add_nc_u32_e32 v3, v15, v16
	s_wait_kmcnt 0x0
	s_lshl_b64 s[6:7], s[6:7], 2
	v_cmp_gt_i32_e32 vcc_lo, s18, v0
	v_cmp_gt_i32_e64 s0, s18, v2
	s_and_b32 s19, s2, vcc_lo
	v_lshl_add_u64 v[12:13], v[6:7], 2, s[14:15]
	v_add_nc_u64_e32 v[6:7], s[8:9], v[8:9]
	v_lshl_add_u64 v[10:11], v[10:11], 2, s[6:7]
	s_lshl_b64 s[8:9], s[22:23], 6
	s_lshl_b64 s[14:15], s[20:21], 6
	v_add_nc_u64_e32 v[8:9], v[12:13], v[8:9]
	s_branch .LBB54_3
.LBB54_2:                               ;   in Loop: Header=BB54_3 Depth=1
	s_wait_xcnt 0x0
	s_or_b32 exec_lo, exec_lo, s2
	s_add_co_i32 s16, s16, 0x10000
	s_delay_alu instid0(SALU_CYCLE_1)
	s_cmp_lt_u32 s16, s3
	s_cbranch_scc0 .LBB54_14
.LBB54_3:                               ; =>This Loop Header: Depth=1
                                        ;     Child Loop BB54_8 Depth 2
	v_mov_b32_e32 v16, s16
	s_clause 0x1
	global_load_b64 v[14:15], v16, s[12:13] scale_offset
	global_load_b64 v[12:13], v16, s[4:5] scale_offset
	s_wait_xcnt 0x0
	v_mov_b32_e32 v16, 0
	s_and_saveexec_b32 s2, s19
	s_cbranch_execz .LBB54_5
; %bb.4:                                ;   in Loop: Header=BB54_3 Depth=1
	s_wait_loadcnt 0x0
	v_add_nc_u64_e32 v[16:17], s[6:7], v[12:13]
	s_delay_alu instid0(VALU_DEP_1)
	v_lshl_add_u64 v[16:17], v[4:5], 2, v[16:17]
	flat_load_b32 v16, v[16:17]
.LBB54_5:                               ;   in Loop: Header=BB54_3 Depth=1
	s_wait_xcnt 0x0
	s_or_b32 exec_lo, exec_lo, s2
	s_and_saveexec_b32 s20, s0
	s_cbranch_execz .LBB54_11
; %bb.6:                                ;   in Loop: Header=BB54_3 Depth=1
	s_wait_loadcnt 0x0
	v_add_nc_u64_e32 v[12:13], v[12:13], v[10:11]
	v_add_nc_u64_e32 v[14:15], v[14:15], v[8:9]
	v_mov_b32_e32 v17, v2
	s_mov_b32 s21, 0
	s_branch .LBB54_8
.LBB54_7:                               ;   in Loop: Header=BB54_8 Depth=2
	s_wait_xcnt 0x0
	s_or_b32 exec_lo, exec_lo, s2
	v_add_nc_u32_e32 v17, 16, v17
	v_add_nc_u64_e32 v[12:13], s[8:9], v[12:13]
	v_add_nc_u64_e32 v[14:15], s[14:15], v[14:15]
	s_delay_alu instid0(VALU_DEP_3) | instskip(SKIP_1) | instid1(SALU_CYCLE_1)
	v_cmp_le_i32_e64 s2, s18, v17
	s_or_b32 s21, s2, s21
	s_and_not1_b32 exec_lo, exec_lo, s21
	s_cbranch_execz .LBB54_10
.LBB54_8:                               ;   Parent Loop BB54_3 Depth=1
                                        ; =>  This Inner Loop Header: Depth=2
	s_delay_alu instid0(VALU_DEP_1) | instskip(SKIP_1) | instid1(SALU_CYCLE_1)
	v_cmp_lt_i32_e64 s2, v17, v0
	s_and_b32 s22, vcc_lo, s2
	s_and_saveexec_b32 s2, s22
	s_cbranch_execz .LBB54_7
; %bb.9:                                ;   in Loop: Header=BB54_8 Depth=2
	flat_load_b32 v18, v[14:15]
	flat_load_b32 v19, v[12:13]
	s_wait_loadcnt_dscnt 0x0
	v_fmac_f32_e32 v16, v18, v19
	s_branch .LBB54_7
.LBB54_10:                              ;   in Loop: Header=BB54_3 Depth=1
	s_or_b32 exec_lo, exec_lo, s21
.LBB54_11:                              ;   in Loop: Header=BB54_3 Depth=1
	s_delay_alu instid0(SALU_CYCLE_1)
	s_or_b32 exec_lo, exec_lo, s20
	s_wait_loadcnt_dscnt 0x0
	ds_store_b32 v3, v16
	s_wait_dscnt 0x0
	s_barrier_signal -1
	s_barrier_wait -1
	s_and_saveexec_b32 s2, s1
	s_cbranch_execz .LBB54_2
; %bb.12:                               ;   in Loop: Header=BB54_3 Depth=1
	ds_load_2addr_stride64_b32 v[12:13], v1 offset1:1
	ds_load_2addr_stride64_b32 v[14:15], v1 offset0:2 offset1:3
	ds_load_2addr_stride64_b32 v[16:17], v1 offset0:4 offset1:5
	;; [unrolled: 1-line block ×3, first 2 shown]
	s_wait_dscnt 0x3
	v_add_f32_e32 v12, v12, v13
	s_wait_dscnt 0x2
	s_delay_alu instid0(VALU_DEP_1) | instskip(NEXT) | instid1(VALU_DEP_1)
	v_add_f32_e32 v12, v14, v12
	v_add_f32_e32 v12, v15, v12
	s_wait_dscnt 0x1
	s_delay_alu instid0(VALU_DEP_1) | instskip(SKIP_3) | instid1(VALU_DEP_1)
	v_add_f32_e32 v14, v16, v12
	ds_load_2addr_stride64_b32 v[12:13], v1 offset0:8 offset1:9
	v_add_f32_e32 v14, v17, v14
	s_wait_dscnt 0x1
	v_add_f32_e32 v16, v18, v14
	ds_load_2addr_stride64_b32 v[14:15], v1 offset0:10 offset1:11
	v_add_f32_e32 v20, v19, v16
	ds_load_2addr_stride64_b32 v[16:17], v1 offset0:12 offset1:13
	ds_load_2addr_stride64_b32 v[18:19], v1 offset0:14 offset1:15
	s_wait_dscnt 0x3
	v_add_f32_e32 v12, v12, v20
	s_delay_alu instid0(VALU_DEP_1) | instskip(SKIP_1) | instid1(VALU_DEP_1)
	v_add_f32_e32 v12, v13, v12
	s_wait_dscnt 0x2
	v_add_f32_e32 v12, v14, v12
	s_delay_alu instid0(VALU_DEP_1) | instskip(SKIP_1) | instid1(VALU_DEP_1)
	v_add_f32_e32 v12, v15, v12
	;; [unrolled: 4-line block ×3, first 2 shown]
	s_wait_dscnt 0x0
	v_add_f32_e32 v12, v18, v12
	s_delay_alu instid0(VALU_DEP_1)
	v_add_f32_e32 v12, v19, v12
	ds_store_b32 v1, v12
	s_and_b32 exec_lo, exec_lo, vcc_lo
	s_cbranch_execz .LBB54_2
; %bb.13:                               ;   in Loop: Header=BB54_3 Depth=1
	s_mul_u64 s[20:21], s[10:11], s[16:17]
	s_delay_alu instid0(SALU_CYCLE_1)
	v_lshl_add_u64 v[14:15], s[20:21], 2, v[6:7]
	global_store_b32 v[14:15], v12, off
	s_branch .LBB54_2
.LBB54_14:
	s_endpgm
	.section	.rodata,"a",@progbits
	.p2align	6, 0x0
	.amdhsa_kernel _ZL20rocblas_trmvn_kernelILi64ELi16ELb1ELb1EPKPKfPKPfS4_EviT3_lllT4_lllT5_li
		.amdhsa_group_segment_fixed_size 4096
		.amdhsa_private_segment_fixed_size 0
		.amdhsa_kernarg_size 352
		.amdhsa_user_sgpr_count 2
		.amdhsa_user_sgpr_dispatch_ptr 0
		.amdhsa_user_sgpr_queue_ptr 0
		.amdhsa_user_sgpr_kernarg_segment_ptr 1
		.amdhsa_user_sgpr_dispatch_id 0
		.amdhsa_user_sgpr_kernarg_preload_length 0
		.amdhsa_user_sgpr_kernarg_preload_offset 0
		.amdhsa_user_sgpr_private_segment_size 0
		.amdhsa_wavefront_size32 1
		.amdhsa_uses_dynamic_stack 0
		.amdhsa_enable_private_segment 0
		.amdhsa_system_sgpr_workgroup_id_x 1
		.amdhsa_system_sgpr_workgroup_id_y 0
		.amdhsa_system_sgpr_workgroup_id_z 1
		.amdhsa_system_sgpr_workgroup_info 0
		.amdhsa_system_vgpr_workitem_id 1
		.amdhsa_next_free_vgpr 21
		.amdhsa_next_free_sgpr 24
		.amdhsa_named_barrier_count 0
		.amdhsa_reserve_vcc 1
		.amdhsa_float_round_mode_32 0
		.amdhsa_float_round_mode_16_64 0
		.amdhsa_float_denorm_mode_32 3
		.amdhsa_float_denorm_mode_16_64 3
		.amdhsa_fp16_overflow 0
		.amdhsa_memory_ordered 1
		.amdhsa_forward_progress 1
		.amdhsa_inst_pref_size 7
		.amdhsa_round_robin_scheduling 0
		.amdhsa_exception_fp_ieee_invalid_op 0
		.amdhsa_exception_fp_denorm_src 0
		.amdhsa_exception_fp_ieee_div_zero 0
		.amdhsa_exception_fp_ieee_overflow 0
		.amdhsa_exception_fp_ieee_underflow 0
		.amdhsa_exception_fp_ieee_inexact 0
		.amdhsa_exception_int_div_zero 0
	.end_amdhsa_kernel
	.section	.text._ZL20rocblas_trmvn_kernelILi64ELi16ELb1ELb1EPKPKfPKPfS4_EviT3_lllT4_lllT5_li,"axG",@progbits,_ZL20rocblas_trmvn_kernelILi64ELi16ELb1ELb1EPKPKfPKPfS4_EviT3_lllT4_lllT5_li,comdat
.Lfunc_end54:
	.size	_ZL20rocblas_trmvn_kernelILi64ELi16ELb1ELb1EPKPKfPKPfS4_EviT3_lllT4_lllT5_li, .Lfunc_end54-_ZL20rocblas_trmvn_kernelILi64ELi16ELb1ELb1EPKPKfPKPfS4_EviT3_lllT4_lllT5_li
                                        ; -- End function
	.set _ZL20rocblas_trmvn_kernelILi64ELi16ELb1ELb1EPKPKfPKPfS4_EviT3_lllT4_lllT5_li.num_vgpr, 21
	.set _ZL20rocblas_trmvn_kernelILi64ELi16ELb1ELb1EPKPKfPKPfS4_EviT3_lllT4_lllT5_li.num_agpr, 0
	.set _ZL20rocblas_trmvn_kernelILi64ELi16ELb1ELb1EPKPKfPKPfS4_EviT3_lllT4_lllT5_li.numbered_sgpr, 24
	.set _ZL20rocblas_trmvn_kernelILi64ELi16ELb1ELb1EPKPKfPKPfS4_EviT3_lllT4_lllT5_li.num_named_barrier, 0
	.set _ZL20rocblas_trmvn_kernelILi64ELi16ELb1ELb1EPKPKfPKPfS4_EviT3_lllT4_lllT5_li.private_seg_size, 0
	.set _ZL20rocblas_trmvn_kernelILi64ELi16ELb1ELb1EPKPKfPKPfS4_EviT3_lllT4_lllT5_li.uses_vcc, 1
	.set _ZL20rocblas_trmvn_kernelILi64ELi16ELb1ELb1EPKPKfPKPfS4_EviT3_lllT4_lllT5_li.uses_flat_scratch, 0
	.set _ZL20rocblas_trmvn_kernelILi64ELi16ELb1ELb1EPKPKfPKPfS4_EviT3_lllT4_lllT5_li.has_dyn_sized_stack, 0
	.set _ZL20rocblas_trmvn_kernelILi64ELi16ELb1ELb1EPKPKfPKPfS4_EviT3_lllT4_lllT5_li.has_recursion, 0
	.set _ZL20rocblas_trmvn_kernelILi64ELi16ELb1ELb1EPKPKfPKPfS4_EviT3_lllT4_lllT5_li.has_indirect_call, 0
	.section	.AMDGPU.csdata,"",@progbits
; Kernel info:
; codeLenInByte = 880
; TotalNumSgprs: 26
; NumVgprs: 21
; ScratchSize: 0
; MemoryBound: 0
; FloatMode: 240
; IeeeMode: 1
; LDSByteSize: 4096 bytes/workgroup (compile time only)
; SGPRBlocks: 0
; VGPRBlocks: 1
; NumSGPRsForWavesPerEU: 26
; NumVGPRsForWavesPerEU: 21
; NamedBarCnt: 0
; Occupancy: 16
; WaveLimiterHint : 1
; COMPUTE_PGM_RSRC2:SCRATCH_EN: 0
; COMPUTE_PGM_RSRC2:USER_SGPR: 2
; COMPUTE_PGM_RSRC2:TRAP_HANDLER: 0
; COMPUTE_PGM_RSRC2:TGID_X_EN: 1
; COMPUTE_PGM_RSRC2:TGID_Y_EN: 0
; COMPUTE_PGM_RSRC2:TGID_Z_EN: 1
; COMPUTE_PGM_RSRC2:TIDIG_COMP_CNT: 1
	.section	.text._ZL20rocblas_trmvt_kernelILi512ELb1ELb0ELb1EPKPKfPKPfS4_EviT3_lllT4_lllT5_li,"axG",@progbits,_ZL20rocblas_trmvt_kernelILi512ELb1ELb0ELb1EPKPKfPKPfS4_EviT3_lllT4_lllT5_li,comdat
	.globl	_ZL20rocblas_trmvt_kernelILi512ELb1ELb0ELb1EPKPKfPKPfS4_EviT3_lllT4_lllT5_li ; -- Begin function _ZL20rocblas_trmvt_kernelILi512ELb1ELb0ELb1EPKPKfPKPfS4_EviT3_lllT4_lllT5_li
	.p2align	8
	.type	_ZL20rocblas_trmvt_kernelILi512ELb1ELb0ELb1EPKPKfPKPfS4_EviT3_lllT4_lllT5_li,@function
_ZL20rocblas_trmvt_kernelILi512ELb1ELb0ELb1EPKPKfPKPfS4_EviT3_lllT4_lllT5_li: ; @_ZL20rocblas_trmvt_kernelILi512ELb1ELb0ELb1EPKPKfPKPfS4_EviT3_lllT4_lllT5_li
; %bb.0:
	s_load_b32 s28, s[0:1], 0x58
	s_bfe_u32 s2, ttmp6, 0x40014
	s_lshr_b32 s4, ttmp7, 16
	s_add_co_i32 s2, s2, 1
	s_bfe_u32 s5, ttmp6, 0x40008
	s_mul_i32 s2, s4, s2
	s_getreg_b32 s3, hwreg(HW_REG_IB_STS2, 6, 4)
	s_add_co_i32 s5, s5, s2
	s_cmp_eq_u32 s3, 0
	s_mov_b32 s17, 0
	s_cselect_b32 s16, s4, s5
	s_wait_kmcnt 0x0
	s_cmp_ge_u32 s16, s28
	s_cbranch_scc1 .LBB55_21
; %bb.1:
	s_clause 0x4
	s_load_b64 s[24:25], s[0:1], 0x38
	s_load_b32 s29, s[0:1], 0x0
	s_load_b128 s[8:11], s[0:1], 0x8
	s_load_b64 s[20:21], s[0:1], 0x18
	s_load_b128 s[12:15], s[0:1], 0x28
	v_dual_mov_b32 v3, 0 :: v_dual_bitop2_b32 v2, 31, v0 bitop3:0x40
	v_mbcnt_lo_u32_b32 v6, -1, 0
	s_load_b128 s[4:7], s[0:1], 0x48
	s_wait_xcnt 0x0
	s_bfe_u32 s1, ttmp6, 0x4000c
	v_dual_mov_b32 v1, v3 :: v_dual_lshrrev_b32 v7, 3, v0
	s_add_co_i32 s2, s1, 1
	s_and_b32 s18, ttmp6, 15
	s_mul_i32 s19, ttmp9, s2
	v_cmp_gt_u32_e64 s2, 24, v6
	s_add_co_i32 s18, s18, s19
	s_cmp_eq_u32 s3, 0
	v_cmp_gt_u32_e64 s0, 32, v0
	s_cselect_b32 s18, ttmp9, s18
	s_wait_kmcnt 0x0
	v_mul_u64_e32 v[4:5], s[24:25], v[0:1]
	v_cndmask_b32_e64 v8, 0, 8, s2
	v_cmp_gt_u32_e64 s2, 28, v6
	v_cmp_gt_i32_e64 s3, s29, v0
	v_dual_lshlrev_b32 v1, 2, v2 :: v_dual_bitop2_b32 v11, 60, v7 bitop3:0x40
	s_lshl_b64 s[14:15], s[14:15], 2
	v_cndmask_b32_e64 v9, 0, 4, s2
	v_cmp_gt_u32_e64 s2, 30, v6
	s_ashr_i32 s19, s18, 31
	v_cmp_gt_u32_e64 s1, 16, v0
	v_lshl_or_b32 v10, v6, 2, 64
	v_add_lshl_u32 v12, v8, v6, 2
	v_cndmask_b32_e64 v14, 0, 2, s2
	v_cmp_ne_u32_e64 s2, 31, v6
	v_add_lshl_u32 v13, v9, v6, 2
	s_lshl_b64 s[22:23], s[18:19], 2
	s_mul_u64 s[26:27], s[24:25], s[18:19]
	v_add_lshl_u32 v14, v14, v6, 2
	v_add_co_ci_u32_e64 v15, null, 0, v6, s2
	v_cmp_eq_u32_e64 s2, 0, v2
	v_cndmask_b32_e64 v2, 0, v0, s3
	s_mul_u64 s[20:21], s[20:21], s[18:19]
	v_lshlrev_b32_e32 v15, 2, v15
	s_add_nc_u64 s[22:23], s[4:5], s[22:23]
	s_lshl_b64 s[24:25], s[24:25], 11
	v_lshlrev_b32_e32 v2, 2, v2
	s_lshl_b64 s[26:27], s[26:27], 2
	s_lshl_b64 s[10:11], s[10:11], 2
	v_cmp_eq_u32_e32 vcc_lo, 0, v0
	v_lshl_add_u64 v[4:5], v[4:5], 2, s[14:15]
	s_branch .LBB55_3
.LBB55_2:                               ;   in Loop: Header=BB55_3 Depth=1
	s_wait_xcnt 0x0
	s_or_b32 exec_lo, exec_lo, s4
	s_add_co_i32 s16, s16, 0x10000
	s_delay_alu instid0(SALU_CYCLE_1)
	s_cmp_lt_u32 s16, s28
	s_cbranch_scc0 .LBB55_21
.LBB55_3:                               ; =>This Loop Header: Depth=1
                                        ;     Child Loop BB55_15 Depth 2
	v_mov_b32_e32 v16, s16
	global_load_b64 v[8:9], v16, s[8:9] scale_offset
	s_wait_dscnt 0x0
	global_load_b64 v[6:7], v16, s[12:13] scale_offset
	s_wait_xcnt 0x0
	v_mov_b32_e32 v16, 0
	s_and_saveexec_b32 s4, vcc_lo
	s_cbranch_execnz .LBB55_12
; %bb.4:                                ;   in Loop: Header=BB55_3 Depth=1
	s_or_b32 exec_lo, exec_lo, s4
	s_and_saveexec_b32 s5, s3
	s_cbranch_execnz .LBB55_13
.LBB55_5:                               ;   in Loop: Header=BB55_3 Depth=1
	s_or_b32 exec_lo, exec_lo, s5
	s_and_saveexec_b32 s4, s0
.LBB55_6:                               ;   in Loop: Header=BB55_3 Depth=1
	ds_store_b32 v1, v3
.LBB55_7:                               ;   in Loop: Header=BB55_3 Depth=1
	s_or_b32 exec_lo, exec_lo, s4
	s_wait_loadcnt 0x0
	ds_bpermute_b32 v6, v10, v16
	s_wait_dscnt 0x0
	s_barrier_signal -1
	s_barrier_wait -1
	v_add_f32_e32 v6, v16, v6
	ds_bpermute_b32 v7, v12, v6
	s_wait_dscnt 0x0
	v_add_f32_e32 v6, v6, v7
	ds_bpermute_b32 v7, v13, v6
	s_wait_dscnt 0x0
	;; [unrolled: 3-line block ×3, first 2 shown]
	v_add_f32_e32 v6, v6, v7
	ds_bpermute_b32 v7, v15, v6
	s_and_saveexec_b32 s4, s2
	s_cbranch_execz .LBB55_9
; %bb.8:                                ;   in Loop: Header=BB55_3 Depth=1
	s_wait_dscnt 0x0
	v_add_f32_e32 v6, v6, v7
	ds_store_b32 v11, v6
.LBB55_9:                               ;   in Loop: Header=BB55_3 Depth=1
	s_or_b32 exec_lo, exec_lo, s4
	v_mov_b32_e32 v6, 0
	s_wait_dscnt 0x0
	s_barrier_signal -1
	s_barrier_wait -1
	s_and_saveexec_b32 s4, s1
	s_cbranch_execnz .LBB55_17
; %bb.10:                               ;   in Loop: Header=BB55_3 Depth=1
	s_or_b32 exec_lo, exec_lo, s4
	s_and_saveexec_b32 s4, s0
	s_cbranch_execnz .LBB55_18
.LBB55_11:                              ;   in Loop: Header=BB55_3 Depth=1
	s_or_b32 exec_lo, exec_lo, s4
	s_and_saveexec_b32 s4, vcc_lo
	s_cbranch_execz .LBB55_2
	s_branch .LBB55_19
.LBB55_12:                              ;   in Loop: Header=BB55_3 Depth=1
	s_wait_loadcnt 0x0
	v_add_nc_u64_e32 v[16:17], s[14:15], v[6:7]
	s_delay_alu instid0(VALU_DEP_1)
	v_add_nc_u64_e32 v[16:17], s[26:27], v[16:17]
	flat_load_b32 v16, v[16:17]
	s_wait_loadcnt_dscnt 0x0
	s_wait_xcnt 0x0
	v_add_f32_e32 v16, 0, v16
	s_or_b32 exec_lo, exec_lo, s4
	s_and_saveexec_b32 s5, s3
	s_cbranch_execz .LBB55_5
.LBB55_13:                              ;   in Loop: Header=BB55_3 Depth=1
	s_wait_loadcnt 0x1
	v_add_nc_u64_e32 v[8:9], s[10:11], v[8:9]
	s_wait_loadcnt 0x0
	v_add_nc_u64_e32 v[6:7], v[6:7], v[4:5]
	v_mov_b32_e32 v17, v0
	s_mov_b32 s19, 0
	s_delay_alu instid0(VALU_DEP_3) | instskip(NEXT) | instid1(VALU_DEP_1)
	v_add_nc_u64_e32 v[8:9], v[8:9], v[2:3]
	v_lshl_add_u64 v[8:9], s[20:21], 2, v[8:9]
	s_branch .LBB55_15
.LBB55_14:                              ;   in Loop: Header=BB55_15 Depth=2
	s_wait_xcnt 0x0
	s_or_b32 exec_lo, exec_lo, s30
	v_add_nc_u32_e32 v17, 0x200, v17
	v_add_nc_u64_e32 v[8:9], 0x800, v[8:9]
	v_add_nc_u64_e32 v[6:7], s[24:25], v[6:7]
	s_delay_alu instid0(VALU_DEP_3) | instskip(SKIP_1) | instid1(SALU_CYCLE_1)
	v_cmp_le_i32_e64 s4, s29, v17
	s_or_b32 s19, s4, s19
	s_and_not1_b32 exec_lo, exec_lo, s19
	s_cbranch_execz .LBB55_20
.LBB55_15:                              ;   Parent Loop BB55_3 Depth=1
                                        ; =>  This Inner Loop Header: Depth=2
	s_mov_b32 s30, exec_lo
	v_cmpx_lt_i32_e64 s18, v17
	s_cbranch_execz .LBB55_14
; %bb.16:                               ;   in Loop: Header=BB55_15 Depth=2
	flat_load_b32 v18, v[8:9]
	flat_load_b32 v19, v[6:7]
	s_wait_loadcnt_dscnt 0x0
	v_fmac_f32_e32 v16, v18, v19
	s_branch .LBB55_14
.LBB55_17:                              ;   in Loop: Header=BB55_3 Depth=1
	ds_load_b32 v6, v1
	s_or_b32 exec_lo, exec_lo, s4
	s_and_saveexec_b32 s4, s0
	s_cbranch_execz .LBB55_11
.LBB55_18:                              ;   in Loop: Header=BB55_3 Depth=1
	s_wait_dscnt 0x0
	ds_bpermute_b32 v7, v12, v6
	s_wait_dscnt 0x0
	v_add_f32_e32 v6, v6, v7
	ds_bpermute_b32 v7, v13, v6
	s_wait_dscnt 0x0
	v_add_f32_e32 v6, v6, v7
	;; [unrolled: 3-line block ×4, first 2 shown]
	s_or_b32 exec_lo, exec_lo, s4
	s_and_saveexec_b32 s4, vcc_lo
	s_cbranch_execz .LBB55_2
.LBB55_19:                              ;   in Loop: Header=BB55_3 Depth=1
	s_mul_u64 s[30:31], s[6:7], s[16:17]
	s_delay_alu instid0(SALU_CYCLE_1) | instskip(NEXT) | instid1(SALU_CYCLE_1)
	s_lshl_b64 s[30:31], s[30:31], 2
	s_add_nc_u64 s[30:31], s[22:23], s[30:31]
	s_wait_dscnt 0x0
	global_store_b32 v3, v6, s[30:31]
	s_branch .LBB55_2
.LBB55_20:                              ;   in Loop: Header=BB55_3 Depth=1
	s_or_b32 exec_lo, exec_lo, s19
	s_delay_alu instid0(SALU_CYCLE_1)
	s_or_b32 exec_lo, exec_lo, s5
	s_and_saveexec_b32 s4, s0
	s_cbranch_execnz .LBB55_6
	s_branch .LBB55_7
.LBB55_21:
	s_endpgm
	.section	.rodata,"a",@progbits
	.p2align	6, 0x0
	.amdhsa_kernel _ZL20rocblas_trmvt_kernelILi512ELb1ELb0ELb1EPKPKfPKPfS4_EviT3_lllT4_lllT5_li
		.amdhsa_group_segment_fixed_size 128
		.amdhsa_private_segment_fixed_size 0
		.amdhsa_kernarg_size 92
		.amdhsa_user_sgpr_count 2
		.amdhsa_user_sgpr_dispatch_ptr 0
		.amdhsa_user_sgpr_queue_ptr 0
		.amdhsa_user_sgpr_kernarg_segment_ptr 1
		.amdhsa_user_sgpr_dispatch_id 0
		.amdhsa_user_sgpr_kernarg_preload_length 0
		.amdhsa_user_sgpr_kernarg_preload_offset 0
		.amdhsa_user_sgpr_private_segment_size 0
		.amdhsa_wavefront_size32 1
		.amdhsa_uses_dynamic_stack 0
		.amdhsa_enable_private_segment 0
		.amdhsa_system_sgpr_workgroup_id_x 1
		.amdhsa_system_sgpr_workgroup_id_y 0
		.amdhsa_system_sgpr_workgroup_id_z 1
		.amdhsa_system_sgpr_workgroup_info 0
		.amdhsa_system_vgpr_workitem_id 0
		.amdhsa_next_free_vgpr 20
		.amdhsa_next_free_sgpr 32
		.amdhsa_named_barrier_count 0
		.amdhsa_reserve_vcc 1
		.amdhsa_float_round_mode_32 0
		.amdhsa_float_round_mode_16_64 0
		.amdhsa_float_denorm_mode_32 3
		.amdhsa_float_denorm_mode_16_64 3
		.amdhsa_fp16_overflow 0
		.amdhsa_memory_ordered 1
		.amdhsa_forward_progress 1
		.amdhsa_inst_pref_size 9
		.amdhsa_round_robin_scheduling 0
		.amdhsa_exception_fp_ieee_invalid_op 0
		.amdhsa_exception_fp_denorm_src 0
		.amdhsa_exception_fp_ieee_div_zero 0
		.amdhsa_exception_fp_ieee_overflow 0
		.amdhsa_exception_fp_ieee_underflow 0
		.amdhsa_exception_fp_ieee_inexact 0
		.amdhsa_exception_int_div_zero 0
	.end_amdhsa_kernel
	.section	.text._ZL20rocblas_trmvt_kernelILi512ELb1ELb0ELb1EPKPKfPKPfS4_EviT3_lllT4_lllT5_li,"axG",@progbits,_ZL20rocblas_trmvt_kernelILi512ELb1ELb0ELb1EPKPKfPKPfS4_EviT3_lllT4_lllT5_li,comdat
.Lfunc_end55:
	.size	_ZL20rocblas_trmvt_kernelILi512ELb1ELb0ELb1EPKPKfPKPfS4_EviT3_lllT4_lllT5_li, .Lfunc_end55-_ZL20rocblas_trmvt_kernelILi512ELb1ELb0ELb1EPKPKfPKPfS4_EviT3_lllT4_lllT5_li
                                        ; -- End function
	.set _ZL20rocblas_trmvt_kernelILi512ELb1ELb0ELb1EPKPKfPKPfS4_EviT3_lllT4_lllT5_li.num_vgpr, 20
	.set _ZL20rocblas_trmvt_kernelILi512ELb1ELb0ELb1EPKPKfPKPfS4_EviT3_lllT4_lllT5_li.num_agpr, 0
	.set _ZL20rocblas_trmvt_kernelILi512ELb1ELb0ELb1EPKPKfPKPfS4_EviT3_lllT4_lllT5_li.numbered_sgpr, 32
	.set _ZL20rocblas_trmvt_kernelILi512ELb1ELb0ELb1EPKPKfPKPfS4_EviT3_lllT4_lllT5_li.num_named_barrier, 0
	.set _ZL20rocblas_trmvt_kernelILi512ELb1ELb0ELb1EPKPKfPKPfS4_EviT3_lllT4_lllT5_li.private_seg_size, 0
	.set _ZL20rocblas_trmvt_kernelILi512ELb1ELb0ELb1EPKPKfPKPfS4_EviT3_lllT4_lllT5_li.uses_vcc, 1
	.set _ZL20rocblas_trmvt_kernelILi512ELb1ELb0ELb1EPKPKfPKPfS4_EviT3_lllT4_lllT5_li.uses_flat_scratch, 0
	.set _ZL20rocblas_trmvt_kernelILi512ELb1ELb0ELb1EPKPKfPKPfS4_EviT3_lllT4_lllT5_li.has_dyn_sized_stack, 0
	.set _ZL20rocblas_trmvt_kernelILi512ELb1ELb0ELb1EPKPKfPKPfS4_EviT3_lllT4_lllT5_li.has_recursion, 0
	.set _ZL20rocblas_trmvt_kernelILi512ELb1ELb0ELb1EPKPKfPKPfS4_EviT3_lllT4_lllT5_li.has_indirect_call, 0
	.section	.AMDGPU.csdata,"",@progbits
; Kernel info:
; codeLenInByte = 1040
; TotalNumSgprs: 34
; NumVgprs: 20
; ScratchSize: 0
; MemoryBound: 0
; FloatMode: 240
; IeeeMode: 1
; LDSByteSize: 128 bytes/workgroup (compile time only)
; SGPRBlocks: 0
; VGPRBlocks: 1
; NumSGPRsForWavesPerEU: 34
; NumVGPRsForWavesPerEU: 20
; NamedBarCnt: 0
; Occupancy: 16
; WaveLimiterHint : 1
; COMPUTE_PGM_RSRC2:SCRATCH_EN: 0
; COMPUTE_PGM_RSRC2:USER_SGPR: 2
; COMPUTE_PGM_RSRC2:TRAP_HANDLER: 0
; COMPUTE_PGM_RSRC2:TGID_X_EN: 1
; COMPUTE_PGM_RSRC2:TGID_Y_EN: 0
; COMPUTE_PGM_RSRC2:TGID_Z_EN: 1
; COMPUTE_PGM_RSRC2:TIDIG_COMP_CNT: 0
	.section	.text._ZL20rocblas_trmvt_kernelILi512ELb1ELb1ELb1EPKPKfPKPfS4_EviT3_lllT4_lllT5_li,"axG",@progbits,_ZL20rocblas_trmvt_kernelILi512ELb1ELb1ELb1EPKPKfPKPfS4_EviT3_lllT4_lllT5_li,comdat
	.globl	_ZL20rocblas_trmvt_kernelILi512ELb1ELb1ELb1EPKPKfPKPfS4_EviT3_lllT4_lllT5_li ; -- Begin function _ZL20rocblas_trmvt_kernelILi512ELb1ELb1ELb1EPKPKfPKPfS4_EviT3_lllT4_lllT5_li
	.p2align	8
	.type	_ZL20rocblas_trmvt_kernelILi512ELb1ELb1ELb1EPKPKfPKPfS4_EviT3_lllT4_lllT5_li,@function
_ZL20rocblas_trmvt_kernelILi512ELb1ELb1ELb1EPKPKfPKPfS4_EviT3_lllT4_lllT5_li: ; @_ZL20rocblas_trmvt_kernelILi512ELb1ELb1ELb1EPKPKfPKPfS4_EviT3_lllT4_lllT5_li
; %bb.0:
	s_load_b32 s28, s[0:1], 0x58
	s_bfe_u32 s2, ttmp6, 0x40014
	s_lshr_b32 s4, ttmp7, 16
	s_add_co_i32 s2, s2, 1
	s_bfe_u32 s5, ttmp6, 0x40008
	s_mul_i32 s2, s4, s2
	s_getreg_b32 s3, hwreg(HW_REG_IB_STS2, 6, 4)
	s_add_co_i32 s5, s5, s2
	s_cmp_eq_u32 s3, 0
	s_mov_b32 s17, 0
	s_cselect_b32 s16, s4, s5
	s_wait_kmcnt 0x0
	s_cmp_ge_u32 s16, s28
	s_cbranch_scc1 .LBB56_21
; %bb.1:
	s_clause 0x4
	s_load_b64 s[24:25], s[0:1], 0x38
	s_load_b32 s29, s[0:1], 0x0
	s_load_b128 s[8:11], s[0:1], 0x8
	s_load_b64 s[20:21], s[0:1], 0x18
	s_load_b128 s[12:15], s[0:1], 0x28
	v_dual_mov_b32 v3, 0 :: v_dual_bitop2_b32 v2, 31, v0 bitop3:0x40
	v_mbcnt_lo_u32_b32 v6, -1, 0
	s_load_b128 s[4:7], s[0:1], 0x48
	s_wait_xcnt 0x0
	s_bfe_u32 s1, ttmp6, 0x4000c
	v_dual_mov_b32 v1, v3 :: v_dual_lshrrev_b32 v7, 3, v0
	s_add_co_i32 s2, s1, 1
	s_and_b32 s18, ttmp6, 15
	s_mul_i32 s19, ttmp9, s2
	v_cmp_gt_u32_e64 s2, 24, v6
	s_add_co_i32 s18, s18, s19
	s_cmp_eq_u32 s3, 0
	v_cmp_gt_u32_e64 s0, 32, v0
	s_cselect_b32 s18, ttmp9, s18
	s_wait_kmcnt 0x0
	v_mul_u64_e32 v[4:5], s[24:25], v[0:1]
	v_cndmask_b32_e64 v8, 0, 8, s2
	v_cmp_gt_u32_e64 s2, 28, v6
	v_cmp_gt_i32_e64 s3, s29, v0
	v_dual_lshlrev_b32 v1, 2, v2 :: v_dual_bitop2_b32 v11, 60, v7 bitop3:0x40
	s_lshl_b64 s[14:15], s[14:15], 2
	v_cndmask_b32_e64 v9, 0, 4, s2
	v_cmp_gt_u32_e64 s2, 30, v6
	s_ashr_i32 s19, s18, 31
	v_cmp_gt_u32_e64 s1, 16, v0
	v_lshl_or_b32 v10, v6, 2, 64
	v_add_lshl_u32 v12, v8, v6, 2
	v_cndmask_b32_e64 v14, 0, 2, s2
	v_cmp_ne_u32_e64 s2, 31, v6
	v_add_lshl_u32 v13, v9, v6, 2
	s_lshl_b64 s[22:23], s[18:19], 2
	s_mul_u64 s[26:27], s[24:25], s[18:19]
	v_add_lshl_u32 v14, v14, v6, 2
	v_add_co_ci_u32_e64 v15, null, 0, v6, s2
	v_cmp_eq_u32_e64 s2, 0, v2
	v_cndmask_b32_e64 v2, 0, v0, s3
	s_mul_u64 s[20:21], s[20:21], s[18:19]
	v_lshlrev_b32_e32 v15, 2, v15
	s_add_nc_u64 s[22:23], s[4:5], s[22:23]
	s_lshl_b64 s[24:25], s[24:25], 11
	v_lshlrev_b32_e32 v2, 2, v2
	s_lshl_b64 s[26:27], s[26:27], 2
	s_lshl_b64 s[10:11], s[10:11], 2
	v_cmp_eq_u32_e32 vcc_lo, 0, v0
	v_lshl_add_u64 v[4:5], v[4:5], 2, s[14:15]
	s_branch .LBB56_3
.LBB56_2:                               ;   in Loop: Header=BB56_3 Depth=1
	s_wait_xcnt 0x0
	s_or_b32 exec_lo, exec_lo, s4
	s_add_co_i32 s16, s16, 0x10000
	s_delay_alu instid0(SALU_CYCLE_1)
	s_cmp_lt_u32 s16, s28
	s_cbranch_scc0 .LBB56_21
.LBB56_3:                               ; =>This Loop Header: Depth=1
                                        ;     Child Loop BB56_15 Depth 2
	v_mov_b32_e32 v16, s16
	global_load_b64 v[8:9], v16, s[8:9] scale_offset
	s_wait_dscnt 0x0
	global_load_b64 v[6:7], v16, s[12:13] scale_offset
	s_wait_xcnt 0x0
	v_mov_b32_e32 v16, 0
	s_and_saveexec_b32 s4, vcc_lo
	s_cbranch_execnz .LBB56_12
; %bb.4:                                ;   in Loop: Header=BB56_3 Depth=1
	s_or_b32 exec_lo, exec_lo, s4
	s_and_saveexec_b32 s5, s3
	s_cbranch_execnz .LBB56_13
.LBB56_5:                               ;   in Loop: Header=BB56_3 Depth=1
	s_or_b32 exec_lo, exec_lo, s5
	s_and_saveexec_b32 s4, s0
.LBB56_6:                               ;   in Loop: Header=BB56_3 Depth=1
	ds_store_b32 v1, v3
.LBB56_7:                               ;   in Loop: Header=BB56_3 Depth=1
	s_or_b32 exec_lo, exec_lo, s4
	s_wait_loadcnt 0x0
	ds_bpermute_b32 v6, v10, v16
	s_wait_dscnt 0x0
	s_barrier_signal -1
	s_barrier_wait -1
	v_add_f32_e32 v6, v16, v6
	ds_bpermute_b32 v7, v12, v6
	s_wait_dscnt 0x0
	v_add_f32_e32 v6, v6, v7
	ds_bpermute_b32 v7, v13, v6
	s_wait_dscnt 0x0
	;; [unrolled: 3-line block ×3, first 2 shown]
	v_add_f32_e32 v6, v6, v7
	ds_bpermute_b32 v7, v15, v6
	s_and_saveexec_b32 s4, s2
	s_cbranch_execz .LBB56_9
; %bb.8:                                ;   in Loop: Header=BB56_3 Depth=1
	s_wait_dscnt 0x0
	v_add_f32_e32 v6, v6, v7
	ds_store_b32 v11, v6
.LBB56_9:                               ;   in Loop: Header=BB56_3 Depth=1
	s_or_b32 exec_lo, exec_lo, s4
	v_mov_b32_e32 v6, 0
	s_wait_dscnt 0x0
	s_barrier_signal -1
	s_barrier_wait -1
	s_and_saveexec_b32 s4, s1
	s_cbranch_execnz .LBB56_17
; %bb.10:                               ;   in Loop: Header=BB56_3 Depth=1
	s_or_b32 exec_lo, exec_lo, s4
	s_and_saveexec_b32 s4, s0
	s_cbranch_execnz .LBB56_18
.LBB56_11:                              ;   in Loop: Header=BB56_3 Depth=1
	s_or_b32 exec_lo, exec_lo, s4
	s_and_saveexec_b32 s4, vcc_lo
	s_cbranch_execz .LBB56_2
	s_branch .LBB56_19
.LBB56_12:                              ;   in Loop: Header=BB56_3 Depth=1
	s_wait_loadcnt 0x0
	v_add_nc_u64_e32 v[16:17], s[14:15], v[6:7]
	s_delay_alu instid0(VALU_DEP_1)
	v_add_nc_u64_e32 v[16:17], s[26:27], v[16:17]
	flat_load_b32 v16, v[16:17]
	s_wait_loadcnt_dscnt 0x0
	s_wait_xcnt 0x0
	v_add_f32_e32 v16, 0, v16
	s_or_b32 exec_lo, exec_lo, s4
	s_and_saveexec_b32 s5, s3
	s_cbranch_execz .LBB56_5
.LBB56_13:                              ;   in Loop: Header=BB56_3 Depth=1
	s_wait_loadcnt 0x1
	v_add_nc_u64_e32 v[8:9], s[10:11], v[8:9]
	s_wait_loadcnt 0x0
	v_add_nc_u64_e32 v[6:7], v[6:7], v[4:5]
	v_mov_b32_e32 v17, v0
	s_mov_b32 s19, 0
	s_delay_alu instid0(VALU_DEP_3) | instskip(NEXT) | instid1(VALU_DEP_1)
	v_add_nc_u64_e32 v[8:9], v[8:9], v[2:3]
	v_lshl_add_u64 v[8:9], s[20:21], 2, v[8:9]
	s_branch .LBB56_15
.LBB56_14:                              ;   in Loop: Header=BB56_15 Depth=2
	s_wait_xcnt 0x0
	s_or_b32 exec_lo, exec_lo, s30
	v_add_nc_u32_e32 v17, 0x200, v17
	v_add_nc_u64_e32 v[8:9], 0x800, v[8:9]
	v_add_nc_u64_e32 v[6:7], s[24:25], v[6:7]
	s_delay_alu instid0(VALU_DEP_3) | instskip(SKIP_1) | instid1(SALU_CYCLE_1)
	v_cmp_le_i32_e64 s4, s29, v17
	s_or_b32 s19, s4, s19
	s_and_not1_b32 exec_lo, exec_lo, s19
	s_cbranch_execz .LBB56_20
.LBB56_15:                              ;   Parent Loop BB56_3 Depth=1
                                        ; =>  This Inner Loop Header: Depth=2
	s_mov_b32 s30, exec_lo
	v_cmpx_lt_i32_e64 s18, v17
	s_cbranch_execz .LBB56_14
; %bb.16:                               ;   in Loop: Header=BB56_15 Depth=2
	flat_load_b32 v18, v[8:9]
	flat_load_b32 v19, v[6:7]
	s_wait_loadcnt_dscnt 0x0
	v_fmac_f32_e32 v16, v18, v19
	s_branch .LBB56_14
.LBB56_17:                              ;   in Loop: Header=BB56_3 Depth=1
	ds_load_b32 v6, v1
	s_or_b32 exec_lo, exec_lo, s4
	s_and_saveexec_b32 s4, s0
	s_cbranch_execz .LBB56_11
.LBB56_18:                              ;   in Loop: Header=BB56_3 Depth=1
	s_wait_dscnt 0x0
	ds_bpermute_b32 v7, v12, v6
	s_wait_dscnt 0x0
	v_add_f32_e32 v6, v6, v7
	ds_bpermute_b32 v7, v13, v6
	s_wait_dscnt 0x0
	v_add_f32_e32 v6, v6, v7
	;; [unrolled: 3-line block ×4, first 2 shown]
	s_or_b32 exec_lo, exec_lo, s4
	s_and_saveexec_b32 s4, vcc_lo
	s_cbranch_execz .LBB56_2
.LBB56_19:                              ;   in Loop: Header=BB56_3 Depth=1
	s_mul_u64 s[30:31], s[6:7], s[16:17]
	s_delay_alu instid0(SALU_CYCLE_1) | instskip(NEXT) | instid1(SALU_CYCLE_1)
	s_lshl_b64 s[30:31], s[30:31], 2
	s_add_nc_u64 s[30:31], s[22:23], s[30:31]
	s_wait_dscnt 0x0
	global_store_b32 v3, v6, s[30:31]
	s_branch .LBB56_2
.LBB56_20:                              ;   in Loop: Header=BB56_3 Depth=1
	s_or_b32 exec_lo, exec_lo, s19
	s_delay_alu instid0(SALU_CYCLE_1)
	s_or_b32 exec_lo, exec_lo, s5
	s_and_saveexec_b32 s4, s0
	s_cbranch_execnz .LBB56_6
	s_branch .LBB56_7
.LBB56_21:
	s_endpgm
	.section	.rodata,"a",@progbits
	.p2align	6, 0x0
	.amdhsa_kernel _ZL20rocblas_trmvt_kernelILi512ELb1ELb1ELb1EPKPKfPKPfS4_EviT3_lllT4_lllT5_li
		.amdhsa_group_segment_fixed_size 128
		.amdhsa_private_segment_fixed_size 0
		.amdhsa_kernarg_size 92
		.amdhsa_user_sgpr_count 2
		.amdhsa_user_sgpr_dispatch_ptr 0
		.amdhsa_user_sgpr_queue_ptr 0
		.amdhsa_user_sgpr_kernarg_segment_ptr 1
		.amdhsa_user_sgpr_dispatch_id 0
		.amdhsa_user_sgpr_kernarg_preload_length 0
		.amdhsa_user_sgpr_kernarg_preload_offset 0
		.amdhsa_user_sgpr_private_segment_size 0
		.amdhsa_wavefront_size32 1
		.amdhsa_uses_dynamic_stack 0
		.amdhsa_enable_private_segment 0
		.amdhsa_system_sgpr_workgroup_id_x 1
		.amdhsa_system_sgpr_workgroup_id_y 0
		.amdhsa_system_sgpr_workgroup_id_z 1
		.amdhsa_system_sgpr_workgroup_info 0
		.amdhsa_system_vgpr_workitem_id 0
		.amdhsa_next_free_vgpr 20
		.amdhsa_next_free_sgpr 32
		.amdhsa_named_barrier_count 0
		.amdhsa_reserve_vcc 1
		.amdhsa_float_round_mode_32 0
		.amdhsa_float_round_mode_16_64 0
		.amdhsa_float_denorm_mode_32 3
		.amdhsa_float_denorm_mode_16_64 3
		.amdhsa_fp16_overflow 0
		.amdhsa_memory_ordered 1
		.amdhsa_forward_progress 1
		.amdhsa_inst_pref_size 9
		.amdhsa_round_robin_scheduling 0
		.amdhsa_exception_fp_ieee_invalid_op 0
		.amdhsa_exception_fp_denorm_src 0
		.amdhsa_exception_fp_ieee_div_zero 0
		.amdhsa_exception_fp_ieee_overflow 0
		.amdhsa_exception_fp_ieee_underflow 0
		.amdhsa_exception_fp_ieee_inexact 0
		.amdhsa_exception_int_div_zero 0
	.end_amdhsa_kernel
	.section	.text._ZL20rocblas_trmvt_kernelILi512ELb1ELb1ELb1EPKPKfPKPfS4_EviT3_lllT4_lllT5_li,"axG",@progbits,_ZL20rocblas_trmvt_kernelILi512ELb1ELb1ELb1EPKPKfPKPfS4_EviT3_lllT4_lllT5_li,comdat
.Lfunc_end56:
	.size	_ZL20rocblas_trmvt_kernelILi512ELb1ELb1ELb1EPKPKfPKPfS4_EviT3_lllT4_lllT5_li, .Lfunc_end56-_ZL20rocblas_trmvt_kernelILi512ELb1ELb1ELb1EPKPKfPKPfS4_EviT3_lllT4_lllT5_li
                                        ; -- End function
	.set _ZL20rocblas_trmvt_kernelILi512ELb1ELb1ELb1EPKPKfPKPfS4_EviT3_lllT4_lllT5_li.num_vgpr, 20
	.set _ZL20rocblas_trmvt_kernelILi512ELb1ELb1ELb1EPKPKfPKPfS4_EviT3_lllT4_lllT5_li.num_agpr, 0
	.set _ZL20rocblas_trmvt_kernelILi512ELb1ELb1ELb1EPKPKfPKPfS4_EviT3_lllT4_lllT5_li.numbered_sgpr, 32
	.set _ZL20rocblas_trmvt_kernelILi512ELb1ELb1ELb1EPKPKfPKPfS4_EviT3_lllT4_lllT5_li.num_named_barrier, 0
	.set _ZL20rocblas_trmvt_kernelILi512ELb1ELb1ELb1EPKPKfPKPfS4_EviT3_lllT4_lllT5_li.private_seg_size, 0
	.set _ZL20rocblas_trmvt_kernelILi512ELb1ELb1ELb1EPKPKfPKPfS4_EviT3_lllT4_lllT5_li.uses_vcc, 1
	.set _ZL20rocblas_trmvt_kernelILi512ELb1ELb1ELb1EPKPKfPKPfS4_EviT3_lllT4_lllT5_li.uses_flat_scratch, 0
	.set _ZL20rocblas_trmvt_kernelILi512ELb1ELb1ELb1EPKPKfPKPfS4_EviT3_lllT4_lllT5_li.has_dyn_sized_stack, 0
	.set _ZL20rocblas_trmvt_kernelILi512ELb1ELb1ELb1EPKPKfPKPfS4_EviT3_lllT4_lllT5_li.has_recursion, 0
	.set _ZL20rocblas_trmvt_kernelILi512ELb1ELb1ELb1EPKPKfPKPfS4_EviT3_lllT4_lllT5_li.has_indirect_call, 0
	.section	.AMDGPU.csdata,"",@progbits
; Kernel info:
; codeLenInByte = 1040
; TotalNumSgprs: 34
; NumVgprs: 20
; ScratchSize: 0
; MemoryBound: 0
; FloatMode: 240
; IeeeMode: 1
; LDSByteSize: 128 bytes/workgroup (compile time only)
; SGPRBlocks: 0
; VGPRBlocks: 1
; NumSGPRsForWavesPerEU: 34
; NumVGPRsForWavesPerEU: 20
; NamedBarCnt: 0
; Occupancy: 16
; WaveLimiterHint : 1
; COMPUTE_PGM_RSRC2:SCRATCH_EN: 0
; COMPUTE_PGM_RSRC2:USER_SGPR: 2
; COMPUTE_PGM_RSRC2:TRAP_HANDLER: 0
; COMPUTE_PGM_RSRC2:TGID_X_EN: 1
; COMPUTE_PGM_RSRC2:TGID_Y_EN: 0
; COMPUTE_PGM_RSRC2:TGID_Z_EN: 1
; COMPUTE_PGM_RSRC2:TIDIG_COMP_CNT: 0
	.section	.text._ZL20rocblas_trmvn_kernelILi64ELi16ELb1ELb0EPKPKfPKPfS4_EviT3_lllT4_lllT5_li,"axG",@progbits,_ZL20rocblas_trmvn_kernelILi64ELi16ELb1ELb0EPKPKfPKPfS4_EviT3_lllT4_lllT5_li,comdat
	.globl	_ZL20rocblas_trmvn_kernelILi64ELi16ELb1ELb0EPKPKfPKPfS4_EviT3_lllT4_lllT5_li ; -- Begin function _ZL20rocblas_trmvn_kernelILi64ELi16ELb1ELb0EPKPKfPKPfS4_EviT3_lllT4_lllT5_li
	.p2align	8
	.type	_ZL20rocblas_trmvn_kernelILi64ELi16ELb1ELb0EPKPKfPKPfS4_EviT3_lllT4_lllT5_li,@function
_ZL20rocblas_trmvn_kernelILi64ELi16ELb1ELb0EPKPKfPKPfS4_EviT3_lllT4_lllT5_li: ; @_ZL20rocblas_trmvn_kernelILi64ELi16ELb1ELb0EPKPKfPKPfS4_EviT3_lllT4_lllT5_li
; %bb.0:
	s_load_b32 s3, s[0:1], 0x58
	s_bfe_u32 s2, ttmp6, 0x40014
	s_lshr_b32 s4, ttmp7, 16
	s_add_co_i32 s2, s2, 1
	s_bfe_u32 s6, ttmp6, 0x40008
	s_mul_i32 s5, s4, s2
	s_getreg_b32 s2, hwreg(HW_REG_IB_STS2, 6, 4)
	s_add_co_i32 s6, s6, s5
	s_cmp_eq_u32 s2, 0
	s_mov_b32 s17, 0
	s_cselect_b32 s16, s4, s6
	s_wait_kmcnt 0x0
	s_cmp_ge_u32 s16, s3
	s_cbranch_scc1 .LBB57_14
; %bb.1:
	s_clause 0x2
	s_load_b32 s4, s[0:1], 0x6c
	s_load_b64 s[18:19], s[0:1], 0x18
	s_load_b64 s[22:23], s[0:1], 0x38
	s_bfe_u32 s5, ttmp6, 0x4000c
	s_and_b32 s6, ttmp6, 15
	s_add_co_i32 s5, s5, 1
	v_and_b32_e32 v10, 0x3ff, v0
	s_mul_i32 s5, ttmp9, s5
	v_bfe_u32 v2, v0, 10, 10
	s_add_co_i32 s8, s6, s5
	s_load_b128 s[12:15], s[0:1], 0x8
	v_lshlrev_b32_e32 v16, 2, v10
	s_delay_alu instid0(VALU_DEP_2)
	v_lshlrev_b32_e32 v17, 8, v2
	s_wait_kmcnt 0x0
	s_and_b32 s21, s4, 0xffff
	s_cmp_eq_u32 s2, 0
	s_load_b128 s[4:7], s[0:1], 0x28
	s_cselect_b32 s2, ttmp9, s8
	s_clause 0x1
	s_load_b32 s20, s[0:1], 0x0
	s_load_b128 s[8:11], s[0:1], 0x48
	v_lshl_add_u32 v0, s2, 6, v10
	v_mov_b32_e32 v3, 0
	v_mad_u32_u24 v19, v2, s21, v10
	v_mul_u32_u24_e32 v18, s21, v2
	v_cmp_eq_u32_e64 s2, 0, v2
	v_ashrrev_i32_e32 v1, 31, v0
	v_mul_u64_e32 v[8:9], s[18:19], v[2:3]
	v_mul_u64_e32 v[12:13], s[22:23], v[2:3]
	s_wait_xcnt 0x0
	v_cmp_gt_u32_e64 s1, 64, v19
	s_lshl_b64 s[14:15], s[14:15], 2
	v_mad_nc_u64_u32 v[4:5], v0, s18, v[0:1]
	v_mul_u64_e32 v[6:7], s[22:23], v[0:1]
	v_lshlrev_b64_e32 v[10:11], 2, v[0:1]
	s_wait_kmcnt 0x0
	s_lshl_b64 s[6:7], s[6:7], 2
	v_cmp_gt_i32_e64 s0, s20, v0
	v_cmp_gt_i32_e32 vcc_lo, s20, v2
	v_mad_u32 v3, v1, s18, v5
	v_lshl_add_u32 v1, v18, 2, v16
	s_and_b32 s21, s2, s0
	s_delay_alu instid0(VALU_DEP_2)
	v_mad_u32 v5, v0, s19, v3
	v_add_nc_u32_e32 v3, v16, v17
	s_lshl_b64 s[18:19], s[18:19], 6
	v_lshl_add_u64 v[14:15], v[8:9], 2, s[14:15]
	v_add_nc_u64_e32 v[8:9], s[8:9], v[10:11]
	v_lshl_add_u64 v[12:13], v[12:13], 2, s[6:7]
	s_lshl_b64 s[8:9], s[22:23], 6
	s_delay_alu instid0(VALU_DEP_3)
	v_add_nc_u64_e32 v[10:11], v[14:15], v[10:11]
	s_branch .LBB57_3
.LBB57_2:                               ;   in Loop: Header=BB57_3 Depth=1
	s_wait_xcnt 0x0
	s_or_b32 exec_lo, exec_lo, s2
	s_add_co_i32 s16, s16, 0x10000
	s_delay_alu instid0(SALU_CYCLE_1)
	s_cmp_lt_u32 s16, s3
	s_cbranch_scc0 .LBB57_14
.LBB57_3:                               ; =>This Loop Header: Depth=1
                                        ;     Child Loop BB57_8 Depth 2
	v_mov_b32_e32 v18, s16
	s_clause 0x1
	global_load_b64 v[16:17], v18, s[12:13] scale_offset
	global_load_b64 v[14:15], v18, s[4:5] scale_offset
	s_wait_xcnt 0x0
	v_mov_b32_e32 v18, 0
	s_and_saveexec_b32 s2, s21
	s_cbranch_execz .LBB57_5
; %bb.4:                                ;   in Loop: Header=BB57_3 Depth=1
	s_wait_loadcnt 0x1
	v_add_nc_u64_e32 v[18:19], s[14:15], v[16:17]
	s_wait_loadcnt 0x0
	v_add_nc_u64_e32 v[20:21], s[6:7], v[14:15]
	s_delay_alu instid0(VALU_DEP_2) | instskip(NEXT) | instid1(VALU_DEP_2)
	v_lshl_add_u64 v[18:19], v[4:5], 2, v[18:19]
	v_lshl_add_u64 v[20:21], v[6:7], 2, v[20:21]
	flat_load_b32 v22, v[18:19]
	flat_load_b32 v23, v[20:21]
	s_wait_loadcnt_dscnt 0x0
	s_wait_xcnt 0x1
	v_mul_f32_e32 v18, v22, v23
.LBB57_5:                               ;   in Loop: Header=BB57_3 Depth=1
	s_wait_xcnt 0x0
	s_or_b32 exec_lo, exec_lo, s2
	s_and_saveexec_b32 s22, vcc_lo
	s_cbranch_execz .LBB57_11
; %bb.6:                                ;   in Loop: Header=BB57_3 Depth=1
	s_wait_loadcnt 0x0
	v_add_nc_u64_e32 v[14:15], v[14:15], v[12:13]
	v_add_nc_u64_e32 v[16:17], v[16:17], v[10:11]
	v_mov_b32_e32 v19, v2
	s_mov_b32 s23, 0
	s_branch .LBB57_8
.LBB57_7:                               ;   in Loop: Header=BB57_8 Depth=2
	s_wait_xcnt 0x0
	s_or_b32 exec_lo, exec_lo, s2
	v_add_nc_u32_e32 v19, 16, v19
	v_add_nc_u64_e32 v[14:15], s[8:9], v[14:15]
	v_add_nc_u64_e32 v[16:17], s[18:19], v[16:17]
	s_delay_alu instid0(VALU_DEP_3) | instskip(SKIP_1) | instid1(SALU_CYCLE_1)
	v_cmp_le_i32_e64 s2, s20, v19
	s_or_b32 s23, s2, s23
	s_and_not1_b32 exec_lo, exec_lo, s23
	s_cbranch_execz .LBB57_10
.LBB57_8:                               ;   Parent Loop BB57_3 Depth=1
                                        ; =>  This Inner Loop Header: Depth=2
	s_delay_alu instid0(VALU_DEP_1) | instskip(SKIP_1) | instid1(SALU_CYCLE_1)
	v_cmp_lt_i32_e64 s2, v19, v0
	s_and_b32 s24, s0, s2
	s_and_saveexec_b32 s2, s24
	s_cbranch_execz .LBB57_7
; %bb.9:                                ;   in Loop: Header=BB57_8 Depth=2
	flat_load_b32 v20, v[16:17]
	flat_load_b32 v21, v[14:15]
	s_wait_loadcnt_dscnt 0x0
	v_fmac_f32_e32 v18, v20, v21
	s_branch .LBB57_7
.LBB57_10:                              ;   in Loop: Header=BB57_3 Depth=1
	s_or_b32 exec_lo, exec_lo, s23
.LBB57_11:                              ;   in Loop: Header=BB57_3 Depth=1
	s_delay_alu instid0(SALU_CYCLE_1)
	s_or_b32 exec_lo, exec_lo, s22
	ds_store_b32 v3, v18
	s_wait_loadcnt_dscnt 0x0
	s_barrier_signal -1
	s_barrier_wait -1
	s_and_saveexec_b32 s2, s1
	s_cbranch_execz .LBB57_2
; %bb.12:                               ;   in Loop: Header=BB57_3 Depth=1
	ds_load_2addr_stride64_b32 v[14:15], v1 offset1:1
	ds_load_2addr_stride64_b32 v[16:17], v1 offset0:2 offset1:3
	ds_load_2addr_stride64_b32 v[18:19], v1 offset0:4 offset1:5
	;; [unrolled: 1-line block ×3, first 2 shown]
	s_wait_dscnt 0x3
	v_add_f32_e32 v14, v14, v15
	s_wait_dscnt 0x2
	s_delay_alu instid0(VALU_DEP_1) | instskip(NEXT) | instid1(VALU_DEP_1)
	v_add_f32_e32 v14, v16, v14
	v_add_f32_e32 v14, v17, v14
	s_wait_dscnt 0x1
	s_delay_alu instid0(VALU_DEP_1) | instskip(SKIP_3) | instid1(VALU_DEP_1)
	v_add_f32_e32 v16, v18, v14
	ds_load_2addr_stride64_b32 v[14:15], v1 offset0:8 offset1:9
	v_add_f32_e32 v16, v19, v16
	s_wait_dscnt 0x1
	v_add_f32_e32 v18, v20, v16
	ds_load_2addr_stride64_b32 v[16:17], v1 offset0:10 offset1:11
	v_add_f32_e32 v22, v21, v18
	ds_load_2addr_stride64_b32 v[18:19], v1 offset0:12 offset1:13
	ds_load_2addr_stride64_b32 v[20:21], v1 offset0:14 offset1:15
	s_wait_dscnt 0x3
	v_add_f32_e32 v14, v14, v22
	s_delay_alu instid0(VALU_DEP_1) | instskip(SKIP_1) | instid1(VALU_DEP_1)
	v_add_f32_e32 v14, v15, v14
	s_wait_dscnt 0x2
	v_add_f32_e32 v14, v16, v14
	s_delay_alu instid0(VALU_DEP_1) | instskip(SKIP_1) | instid1(VALU_DEP_1)
	v_add_f32_e32 v14, v17, v14
	;; [unrolled: 4-line block ×3, first 2 shown]
	s_wait_dscnt 0x0
	v_add_f32_e32 v14, v20, v14
	s_delay_alu instid0(VALU_DEP_1)
	v_add_f32_e32 v14, v21, v14
	ds_store_b32 v1, v14
	s_and_b32 exec_lo, exec_lo, s0
	s_cbranch_execz .LBB57_2
; %bb.13:                               ;   in Loop: Header=BB57_3 Depth=1
	s_mul_u64 s[22:23], s[10:11], s[16:17]
	s_delay_alu instid0(SALU_CYCLE_1)
	v_lshl_add_u64 v[16:17], s[22:23], 2, v[8:9]
	global_store_b32 v[16:17], v14, off
	s_branch .LBB57_2
.LBB57_14:
	s_endpgm
	.section	.rodata,"a",@progbits
	.p2align	6, 0x0
	.amdhsa_kernel _ZL20rocblas_trmvn_kernelILi64ELi16ELb1ELb0EPKPKfPKPfS4_EviT3_lllT4_lllT5_li
		.amdhsa_group_segment_fixed_size 4096
		.amdhsa_private_segment_fixed_size 0
		.amdhsa_kernarg_size 352
		.amdhsa_user_sgpr_count 2
		.amdhsa_user_sgpr_dispatch_ptr 0
		.amdhsa_user_sgpr_queue_ptr 0
		.amdhsa_user_sgpr_kernarg_segment_ptr 1
		.amdhsa_user_sgpr_dispatch_id 0
		.amdhsa_user_sgpr_kernarg_preload_length 0
		.amdhsa_user_sgpr_kernarg_preload_offset 0
		.amdhsa_user_sgpr_private_segment_size 0
		.amdhsa_wavefront_size32 1
		.amdhsa_uses_dynamic_stack 0
		.amdhsa_enable_private_segment 0
		.amdhsa_system_sgpr_workgroup_id_x 1
		.amdhsa_system_sgpr_workgroup_id_y 0
		.amdhsa_system_sgpr_workgroup_id_z 1
		.amdhsa_system_sgpr_workgroup_info 0
		.amdhsa_system_vgpr_workitem_id 1
		.amdhsa_next_free_vgpr 24
		.amdhsa_next_free_sgpr 25
		.amdhsa_named_barrier_count 0
		.amdhsa_reserve_vcc 1
		.amdhsa_float_round_mode_32 0
		.amdhsa_float_round_mode_16_64 0
		.amdhsa_float_denorm_mode_32 3
		.amdhsa_float_denorm_mode_16_64 3
		.amdhsa_fp16_overflow 0
		.amdhsa_memory_ordered 1
		.amdhsa_forward_progress 1
		.amdhsa_inst_pref_size 8
		.amdhsa_round_robin_scheduling 0
		.amdhsa_exception_fp_ieee_invalid_op 0
		.amdhsa_exception_fp_denorm_src 0
		.amdhsa_exception_fp_ieee_div_zero 0
		.amdhsa_exception_fp_ieee_overflow 0
		.amdhsa_exception_fp_ieee_underflow 0
		.amdhsa_exception_fp_ieee_inexact 0
		.amdhsa_exception_int_div_zero 0
	.end_amdhsa_kernel
	.section	.text._ZL20rocblas_trmvn_kernelILi64ELi16ELb1ELb0EPKPKfPKPfS4_EviT3_lllT4_lllT5_li,"axG",@progbits,_ZL20rocblas_trmvn_kernelILi64ELi16ELb1ELb0EPKPKfPKPfS4_EviT3_lllT4_lllT5_li,comdat
.Lfunc_end57:
	.size	_ZL20rocblas_trmvn_kernelILi64ELi16ELb1ELb0EPKPKfPKPfS4_EviT3_lllT4_lllT5_li, .Lfunc_end57-_ZL20rocblas_trmvn_kernelILi64ELi16ELb1ELb0EPKPKfPKPfS4_EviT3_lllT4_lllT5_li
                                        ; -- End function
	.set _ZL20rocblas_trmvn_kernelILi64ELi16ELb1ELb0EPKPKfPKPfS4_EviT3_lllT4_lllT5_li.num_vgpr, 24
	.set _ZL20rocblas_trmvn_kernelILi64ELi16ELb1ELb0EPKPKfPKPfS4_EviT3_lllT4_lllT5_li.num_agpr, 0
	.set _ZL20rocblas_trmvn_kernelILi64ELi16ELb1ELb0EPKPKfPKPfS4_EviT3_lllT4_lllT5_li.numbered_sgpr, 25
	.set _ZL20rocblas_trmvn_kernelILi64ELi16ELb1ELb0EPKPKfPKPfS4_EviT3_lllT4_lllT5_li.num_named_barrier, 0
	.set _ZL20rocblas_trmvn_kernelILi64ELi16ELb1ELb0EPKPKfPKPfS4_EviT3_lllT4_lllT5_li.private_seg_size, 0
	.set _ZL20rocblas_trmvn_kernelILi64ELi16ELb1ELb0EPKPKfPKPfS4_EviT3_lllT4_lllT5_li.uses_vcc, 1
	.set _ZL20rocblas_trmvn_kernelILi64ELi16ELb1ELb0EPKPKfPKPfS4_EviT3_lllT4_lllT5_li.uses_flat_scratch, 0
	.set _ZL20rocblas_trmvn_kernelILi64ELi16ELb1ELb0EPKPKfPKPfS4_EviT3_lllT4_lllT5_li.has_dyn_sized_stack, 0
	.set _ZL20rocblas_trmvn_kernelILi64ELi16ELb1ELb0EPKPKfPKPfS4_EviT3_lllT4_lllT5_li.has_recursion, 0
	.set _ZL20rocblas_trmvn_kernelILi64ELi16ELb1ELb0EPKPKfPKPfS4_EviT3_lllT4_lllT5_li.has_indirect_call, 0
	.section	.AMDGPU.csdata,"",@progbits
; Kernel info:
; codeLenInByte = 940
; TotalNumSgprs: 27
; NumVgprs: 24
; ScratchSize: 0
; MemoryBound: 0
; FloatMode: 240
; IeeeMode: 1
; LDSByteSize: 4096 bytes/workgroup (compile time only)
; SGPRBlocks: 0
; VGPRBlocks: 1
; NumSGPRsForWavesPerEU: 27
; NumVGPRsForWavesPerEU: 24
; NamedBarCnt: 0
; Occupancy: 16
; WaveLimiterHint : 1
; COMPUTE_PGM_RSRC2:SCRATCH_EN: 0
; COMPUTE_PGM_RSRC2:USER_SGPR: 2
; COMPUTE_PGM_RSRC2:TRAP_HANDLER: 0
; COMPUTE_PGM_RSRC2:TGID_X_EN: 1
; COMPUTE_PGM_RSRC2:TGID_Y_EN: 0
; COMPUTE_PGM_RSRC2:TGID_Z_EN: 1
; COMPUTE_PGM_RSRC2:TIDIG_COMP_CNT: 1
	.section	.text._ZL20rocblas_trmvt_kernelILi512ELb1ELb0ELb0EPKPKfPKPfS4_EviT3_lllT4_lllT5_li,"axG",@progbits,_ZL20rocblas_trmvt_kernelILi512ELb1ELb0ELb0EPKPKfPKPfS4_EviT3_lllT4_lllT5_li,comdat
	.globl	_ZL20rocblas_trmvt_kernelILi512ELb1ELb0ELb0EPKPKfPKPfS4_EviT3_lllT4_lllT5_li ; -- Begin function _ZL20rocblas_trmvt_kernelILi512ELb1ELb0ELb0EPKPKfPKPfS4_EviT3_lllT4_lllT5_li
	.p2align	8
	.type	_ZL20rocblas_trmvt_kernelILi512ELb1ELb0ELb0EPKPKfPKPfS4_EviT3_lllT4_lllT5_li,@function
_ZL20rocblas_trmvt_kernelILi512ELb1ELb0ELb0EPKPKfPKPfS4_EviT3_lllT4_lllT5_li: ; @_ZL20rocblas_trmvt_kernelILi512ELb1ELb0ELb0EPKPKfPKPfS4_EviT3_lllT4_lllT5_li
; %bb.0:
	s_load_b32 s28, s[0:1], 0x58
	s_bfe_u32 s2, ttmp6, 0x40014
	s_lshr_b32 s4, ttmp7, 16
	s_add_co_i32 s2, s2, 1
	s_bfe_u32 s5, ttmp6, 0x40008
	s_mul_i32 s2, s4, s2
	s_getreg_b32 s3, hwreg(HW_REG_IB_STS2, 6, 4)
	s_add_co_i32 s5, s5, s2
	s_cmp_eq_u32 s3, 0
	s_mov_b32 s17, 0
	s_cselect_b32 s16, s4, s5
	s_wait_kmcnt 0x0
	s_cmp_ge_u32 s16, s28
	s_cbranch_scc1 .LBB58_21
; %bb.1:
	s_clause 0x4
	s_load_b64 s[24:25], s[0:1], 0x38
	s_load_b32 s29, s[0:1], 0x0
	s_load_b128 s[8:11], s[0:1], 0x8
	s_load_b64 s[20:21], s[0:1], 0x18
	s_load_b128 s[12:15], s[0:1], 0x28
	v_dual_mov_b32 v3, 0 :: v_dual_bitop2_b32 v2, 31, v0 bitop3:0x40
	v_mbcnt_lo_u32_b32 v6, -1, 0
	s_load_b128 s[4:7], s[0:1], 0x48
	s_wait_xcnt 0x0
	s_bfe_u32 s1, ttmp6, 0x4000c
	v_dual_mov_b32 v1, v3 :: v_dual_lshrrev_b32 v7, 3, v0
	s_add_co_i32 s2, s1, 1
	s_and_b32 s18, ttmp6, 15
	s_mul_i32 s19, ttmp9, s2
	v_cmp_gt_u32_e64 s2, 24, v6
	s_add_co_i32 s18, s18, s19
	s_cmp_eq_u32 s3, 0
	v_cmp_gt_u32_e64 s0, 32, v0
	s_cselect_b32 s18, ttmp9, s18
	s_wait_kmcnt 0x0
	v_mul_u64_e32 v[4:5], s[24:25], v[0:1]
	v_cndmask_b32_e64 v8, 0, 8, s2
	v_cmp_gt_u32_e64 s2, 28, v6
	v_cmp_gt_i32_e64 s3, s29, v0
	v_dual_lshlrev_b32 v1, 2, v2 :: v_dual_bitop2_b32 v11, 60, v7 bitop3:0x40
	s_lshl_b64 s[14:15], s[14:15], 2
	v_cndmask_b32_e64 v9, 0, 4, s2
	v_cmp_gt_u32_e64 s2, 30, v6
	s_ashr_i32 s19, s18, 31
	v_cmp_gt_u32_e64 s1, 16, v0
	v_lshl_or_b32 v10, v6, 2, 64
	v_add_lshl_u32 v12, v8, v6, 2
	v_cndmask_b32_e64 v14, 0, 2, s2
	v_cmp_ne_u32_e64 s2, 31, v6
	v_add_lshl_u32 v13, v9, v6, 2
	s_lshl_b64 s[22:23], s[18:19], 2
	s_mul_u64 s[26:27], s[24:25], s[18:19]
	v_add_lshl_u32 v14, v14, v6, 2
	v_add_co_ci_u32_e64 v15, null, 0, v6, s2
	v_cmp_eq_u32_e64 s2, 0, v2
	v_cndmask_b32_e64 v2, 0, v0, s3
	s_mul_u64 s[20:21], s[20:21], s[18:19]
	v_lshlrev_b32_e32 v15, 2, v15
	s_add_nc_u64 s[22:23], s[4:5], s[22:23]
	s_lshl_b64 s[24:25], s[24:25], 11
	v_lshlrev_b32_e32 v2, 2, v2
	s_lshl_b64 s[10:11], s[10:11], 2
	s_lshl_b64 s[26:27], s[26:27], 2
	v_cmp_eq_u32_e32 vcc_lo, 0, v0
	v_lshl_add_u64 v[4:5], v[4:5], 2, s[14:15]
	s_branch .LBB58_3
.LBB58_2:                               ;   in Loop: Header=BB58_3 Depth=1
	s_wait_xcnt 0x0
	s_or_b32 exec_lo, exec_lo, s4
	s_add_co_i32 s16, s16, 0x10000
	s_delay_alu instid0(SALU_CYCLE_1)
	s_cmp_lt_u32 s16, s28
	s_cbranch_scc0 .LBB58_21
.LBB58_3:                               ; =>This Loop Header: Depth=1
                                        ;     Child Loop BB58_15 Depth 2
	v_mov_b32_e32 v16, s16
	s_wait_dscnt 0x0
	s_clause 0x1
	global_load_b64 v[6:7], v16, s[8:9] scale_offset
	global_load_b64 v[8:9], v16, s[12:13] scale_offset
	s_wait_xcnt 0x0
	v_mov_b32_e32 v16, 0
	s_wait_loadcnt 0x1
	v_add_nc_u64_e32 v[6:7], s[10:11], v[6:7]
	s_delay_alu instid0(VALU_DEP_1) | instskip(NEXT) | instid1(VALU_DEP_1)
	v_add_nc_u64_e32 v[6:7], v[6:7], v[2:3]
	v_lshl_add_u64 v[6:7], s[20:21], 2, v[6:7]
	s_and_saveexec_b32 s4, vcc_lo
	s_cbranch_execnz .LBB58_12
; %bb.4:                                ;   in Loop: Header=BB58_3 Depth=1
	s_or_b32 exec_lo, exec_lo, s4
	s_and_saveexec_b32 s5, s3
	s_cbranch_execnz .LBB58_13
.LBB58_5:                               ;   in Loop: Header=BB58_3 Depth=1
	s_or_b32 exec_lo, exec_lo, s5
	s_and_saveexec_b32 s4, s0
.LBB58_6:                               ;   in Loop: Header=BB58_3 Depth=1
	ds_store_b32 v1, v3
.LBB58_7:                               ;   in Loop: Header=BB58_3 Depth=1
	s_or_b32 exec_lo, exec_lo, s4
	ds_bpermute_b32 v6, v10, v16
	s_wait_loadcnt_dscnt 0x0
	s_barrier_signal -1
	s_barrier_wait -1
	v_add_f32_e32 v6, v16, v6
	ds_bpermute_b32 v7, v12, v6
	s_wait_dscnt 0x0
	v_add_f32_e32 v6, v6, v7
	ds_bpermute_b32 v7, v13, v6
	s_wait_dscnt 0x0
	;; [unrolled: 3-line block ×3, first 2 shown]
	v_add_f32_e32 v6, v6, v7
	ds_bpermute_b32 v7, v15, v6
	s_and_saveexec_b32 s4, s2
	s_cbranch_execz .LBB58_9
; %bb.8:                                ;   in Loop: Header=BB58_3 Depth=1
	s_wait_dscnt 0x0
	v_add_f32_e32 v6, v6, v7
	ds_store_b32 v11, v6
.LBB58_9:                               ;   in Loop: Header=BB58_3 Depth=1
	s_or_b32 exec_lo, exec_lo, s4
	v_mov_b32_e32 v6, 0
	s_wait_dscnt 0x0
	s_barrier_signal -1
	s_barrier_wait -1
	s_and_saveexec_b32 s4, s1
	s_cbranch_execnz .LBB58_17
; %bb.10:                               ;   in Loop: Header=BB58_3 Depth=1
	s_or_b32 exec_lo, exec_lo, s4
	s_and_saveexec_b32 s4, s0
	s_cbranch_execnz .LBB58_18
.LBB58_11:                              ;   in Loop: Header=BB58_3 Depth=1
	s_or_b32 exec_lo, exec_lo, s4
	s_and_saveexec_b32 s4, vcc_lo
	s_cbranch_execz .LBB58_2
	s_branch .LBB58_19
.LBB58_12:                              ;   in Loop: Header=BB58_3 Depth=1
	s_wait_loadcnt 0x0
	v_add_nc_u64_e32 v[16:17], s[14:15], v[8:9]
	v_lshl_add_u64 v[18:19], s[18:19], 2, v[6:7]
	s_delay_alu instid0(VALU_DEP_2)
	v_add_nc_u64_e32 v[16:17], s[26:27], v[16:17]
	flat_load_b32 v20, v[18:19]
	flat_load_b32 v21, v[16:17]
	s_wait_loadcnt_dscnt 0x0
	s_wait_xcnt 0x0
	v_fma_f32 v16, v20, v21, 0
	s_or_b32 exec_lo, exec_lo, s4
	s_and_saveexec_b32 s5, s3
	s_cbranch_execz .LBB58_5
.LBB58_13:                              ;   in Loop: Header=BB58_3 Depth=1
	s_wait_loadcnt 0x0
	v_add_nc_u64_e32 v[8:9], v[8:9], v[4:5]
	v_mov_b32_e32 v17, v0
	s_mov_b32 s30, 0
	s_branch .LBB58_15
.LBB58_14:                              ;   in Loop: Header=BB58_15 Depth=2
	s_wait_xcnt 0x0
	s_or_b32 exec_lo, exec_lo, s31
	v_add_nc_u32_e32 v17, 0x200, v17
	v_add_nc_u64_e32 v[6:7], 0x800, v[6:7]
	v_add_nc_u64_e32 v[8:9], s[24:25], v[8:9]
	s_delay_alu instid0(VALU_DEP_3) | instskip(SKIP_1) | instid1(SALU_CYCLE_1)
	v_cmp_le_i32_e64 s4, s29, v17
	s_or_b32 s30, s4, s30
	s_and_not1_b32 exec_lo, exec_lo, s30
	s_cbranch_execz .LBB58_20
.LBB58_15:                              ;   Parent Loop BB58_3 Depth=1
                                        ; =>  This Inner Loop Header: Depth=2
	s_mov_b32 s31, exec_lo
	s_delay_alu instid0(VALU_DEP_1)
	v_cmpx_lt_i32_e64 s18, v17
	s_cbranch_execz .LBB58_14
; %bb.16:                               ;   in Loop: Header=BB58_15 Depth=2
	flat_load_b32 v18, v[6:7]
	flat_load_b32 v19, v[8:9]
	s_wait_loadcnt_dscnt 0x0
	v_fmac_f32_e32 v16, v18, v19
	s_branch .LBB58_14
.LBB58_17:                              ;   in Loop: Header=BB58_3 Depth=1
	ds_load_b32 v6, v1
	s_or_b32 exec_lo, exec_lo, s4
	s_and_saveexec_b32 s4, s0
	s_cbranch_execz .LBB58_11
.LBB58_18:                              ;   in Loop: Header=BB58_3 Depth=1
	s_wait_dscnt 0x0
	ds_bpermute_b32 v7, v12, v6
	s_wait_dscnt 0x0
	v_add_f32_e32 v6, v6, v7
	ds_bpermute_b32 v7, v13, v6
	s_wait_dscnt 0x0
	v_add_f32_e32 v6, v6, v7
	;; [unrolled: 3-line block ×4, first 2 shown]
	s_or_b32 exec_lo, exec_lo, s4
	s_and_saveexec_b32 s4, vcc_lo
	s_cbranch_execz .LBB58_2
.LBB58_19:                              ;   in Loop: Header=BB58_3 Depth=1
	s_mul_u64 s[30:31], s[6:7], s[16:17]
	s_delay_alu instid0(SALU_CYCLE_1) | instskip(NEXT) | instid1(SALU_CYCLE_1)
	s_lshl_b64 s[30:31], s[30:31], 2
	s_add_nc_u64 s[30:31], s[22:23], s[30:31]
	s_wait_dscnt 0x0
	global_store_b32 v3, v6, s[30:31]
	s_branch .LBB58_2
.LBB58_20:                              ;   in Loop: Header=BB58_3 Depth=1
	s_or_b32 exec_lo, exec_lo, s30
	s_delay_alu instid0(SALU_CYCLE_1)
	s_or_b32 exec_lo, exec_lo, s5
	s_and_saveexec_b32 s4, s0
	s_cbranch_execnz .LBB58_6
	s_branch .LBB58_7
.LBB58_21:
	s_endpgm
	.section	.rodata,"a",@progbits
	.p2align	6, 0x0
	.amdhsa_kernel _ZL20rocblas_trmvt_kernelILi512ELb1ELb0ELb0EPKPKfPKPfS4_EviT3_lllT4_lllT5_li
		.amdhsa_group_segment_fixed_size 128
		.amdhsa_private_segment_fixed_size 0
		.amdhsa_kernarg_size 92
		.amdhsa_user_sgpr_count 2
		.amdhsa_user_sgpr_dispatch_ptr 0
		.amdhsa_user_sgpr_queue_ptr 0
		.amdhsa_user_sgpr_kernarg_segment_ptr 1
		.amdhsa_user_sgpr_dispatch_id 0
		.amdhsa_user_sgpr_kernarg_preload_length 0
		.amdhsa_user_sgpr_kernarg_preload_offset 0
		.amdhsa_user_sgpr_private_segment_size 0
		.amdhsa_wavefront_size32 1
		.amdhsa_uses_dynamic_stack 0
		.amdhsa_enable_private_segment 0
		.amdhsa_system_sgpr_workgroup_id_x 1
		.amdhsa_system_sgpr_workgroup_id_y 0
		.amdhsa_system_sgpr_workgroup_id_z 1
		.amdhsa_system_sgpr_workgroup_info 0
		.amdhsa_system_vgpr_workitem_id 0
		.amdhsa_next_free_vgpr 22
		.amdhsa_next_free_sgpr 32
		.amdhsa_named_barrier_count 0
		.amdhsa_reserve_vcc 1
		.amdhsa_float_round_mode_32 0
		.amdhsa_float_round_mode_16_64 0
		.amdhsa_float_denorm_mode_32 3
		.amdhsa_float_denorm_mode_16_64 3
		.amdhsa_fp16_overflow 0
		.amdhsa_memory_ordered 1
		.amdhsa_forward_progress 1
		.amdhsa_inst_pref_size 9
		.amdhsa_round_robin_scheduling 0
		.amdhsa_exception_fp_ieee_invalid_op 0
		.amdhsa_exception_fp_denorm_src 0
		.amdhsa_exception_fp_ieee_div_zero 0
		.amdhsa_exception_fp_ieee_overflow 0
		.amdhsa_exception_fp_ieee_underflow 0
		.amdhsa_exception_fp_ieee_inexact 0
		.amdhsa_exception_int_div_zero 0
	.end_amdhsa_kernel
	.section	.text._ZL20rocblas_trmvt_kernelILi512ELb1ELb0ELb0EPKPKfPKPfS4_EviT3_lllT4_lllT5_li,"axG",@progbits,_ZL20rocblas_trmvt_kernelILi512ELb1ELb0ELb0EPKPKfPKPfS4_EviT3_lllT4_lllT5_li,comdat
.Lfunc_end58:
	.size	_ZL20rocblas_trmvt_kernelILi512ELb1ELb0ELb0EPKPKfPKPfS4_EviT3_lllT4_lllT5_li, .Lfunc_end58-_ZL20rocblas_trmvt_kernelILi512ELb1ELb0ELb0EPKPKfPKPfS4_EviT3_lllT4_lllT5_li
                                        ; -- End function
	.set _ZL20rocblas_trmvt_kernelILi512ELb1ELb0ELb0EPKPKfPKPfS4_EviT3_lllT4_lllT5_li.num_vgpr, 22
	.set _ZL20rocblas_trmvt_kernelILi512ELb1ELb0ELb0EPKPKfPKPfS4_EviT3_lllT4_lllT5_li.num_agpr, 0
	.set _ZL20rocblas_trmvt_kernelILi512ELb1ELb0ELb0EPKPKfPKPfS4_EviT3_lllT4_lllT5_li.numbered_sgpr, 32
	.set _ZL20rocblas_trmvt_kernelILi512ELb1ELb0ELb0EPKPKfPKPfS4_EviT3_lllT4_lllT5_li.num_named_barrier, 0
	.set _ZL20rocblas_trmvt_kernelILi512ELb1ELb0ELb0EPKPKfPKPfS4_EviT3_lllT4_lllT5_li.private_seg_size, 0
	.set _ZL20rocblas_trmvt_kernelILi512ELb1ELb0ELb0EPKPKfPKPfS4_EviT3_lllT4_lllT5_li.uses_vcc, 1
	.set _ZL20rocblas_trmvt_kernelILi512ELb1ELb0ELb0EPKPKfPKPfS4_EviT3_lllT4_lllT5_li.uses_flat_scratch, 0
	.set _ZL20rocblas_trmvt_kernelILi512ELb1ELb0ELb0EPKPKfPKPfS4_EviT3_lllT4_lllT5_li.has_dyn_sized_stack, 0
	.set _ZL20rocblas_trmvt_kernelILi512ELb1ELb0ELb0EPKPKfPKPfS4_EviT3_lllT4_lllT5_li.has_recursion, 0
	.set _ZL20rocblas_trmvt_kernelILi512ELb1ELb0ELb0EPKPKfPKPfS4_EviT3_lllT4_lllT5_li.has_indirect_call, 0
	.section	.AMDGPU.csdata,"",@progbits
; Kernel info:
; codeLenInByte = 1068
; TotalNumSgprs: 34
; NumVgprs: 22
; ScratchSize: 0
; MemoryBound: 0
; FloatMode: 240
; IeeeMode: 1
; LDSByteSize: 128 bytes/workgroup (compile time only)
; SGPRBlocks: 0
; VGPRBlocks: 1
; NumSGPRsForWavesPerEU: 34
; NumVGPRsForWavesPerEU: 22
; NamedBarCnt: 0
; Occupancy: 16
; WaveLimiterHint : 1
; COMPUTE_PGM_RSRC2:SCRATCH_EN: 0
; COMPUTE_PGM_RSRC2:USER_SGPR: 2
; COMPUTE_PGM_RSRC2:TRAP_HANDLER: 0
; COMPUTE_PGM_RSRC2:TGID_X_EN: 1
; COMPUTE_PGM_RSRC2:TGID_Y_EN: 0
; COMPUTE_PGM_RSRC2:TGID_Z_EN: 1
; COMPUTE_PGM_RSRC2:TIDIG_COMP_CNT: 0
	.section	.text._ZL20rocblas_trmvt_kernelILi512ELb1ELb1ELb0EPKPKfPKPfS4_EviT3_lllT4_lllT5_li,"axG",@progbits,_ZL20rocblas_trmvt_kernelILi512ELb1ELb1ELb0EPKPKfPKPfS4_EviT3_lllT4_lllT5_li,comdat
	.globl	_ZL20rocblas_trmvt_kernelILi512ELb1ELb1ELb0EPKPKfPKPfS4_EviT3_lllT4_lllT5_li ; -- Begin function _ZL20rocblas_trmvt_kernelILi512ELb1ELb1ELb0EPKPKfPKPfS4_EviT3_lllT4_lllT5_li
	.p2align	8
	.type	_ZL20rocblas_trmvt_kernelILi512ELb1ELb1ELb0EPKPKfPKPfS4_EviT3_lllT4_lllT5_li,@function
_ZL20rocblas_trmvt_kernelILi512ELb1ELb1ELb0EPKPKfPKPfS4_EviT3_lllT4_lllT5_li: ; @_ZL20rocblas_trmvt_kernelILi512ELb1ELb1ELb0EPKPKfPKPfS4_EviT3_lllT4_lllT5_li
; %bb.0:
	s_load_b32 s28, s[0:1], 0x58
	s_bfe_u32 s2, ttmp6, 0x40014
	s_lshr_b32 s4, ttmp7, 16
	s_add_co_i32 s2, s2, 1
	s_bfe_u32 s5, ttmp6, 0x40008
	s_mul_i32 s2, s4, s2
	s_getreg_b32 s3, hwreg(HW_REG_IB_STS2, 6, 4)
	s_add_co_i32 s5, s5, s2
	s_cmp_eq_u32 s3, 0
	s_mov_b32 s17, 0
	s_cselect_b32 s16, s4, s5
	s_wait_kmcnt 0x0
	s_cmp_ge_u32 s16, s28
	s_cbranch_scc1 .LBB59_21
; %bb.1:
	s_clause 0x4
	s_load_b64 s[24:25], s[0:1], 0x38
	s_load_b32 s29, s[0:1], 0x0
	s_load_b128 s[8:11], s[0:1], 0x8
	s_load_b64 s[20:21], s[0:1], 0x18
	s_load_b128 s[12:15], s[0:1], 0x28
	v_dual_mov_b32 v3, 0 :: v_dual_bitop2_b32 v2, 31, v0 bitop3:0x40
	v_mbcnt_lo_u32_b32 v6, -1, 0
	s_load_b128 s[4:7], s[0:1], 0x48
	s_wait_xcnt 0x0
	s_bfe_u32 s1, ttmp6, 0x4000c
	v_dual_mov_b32 v1, v3 :: v_dual_lshrrev_b32 v7, 3, v0
	s_add_co_i32 s2, s1, 1
	s_and_b32 s18, ttmp6, 15
	s_mul_i32 s19, ttmp9, s2
	v_cmp_gt_u32_e64 s2, 24, v6
	s_add_co_i32 s18, s18, s19
	s_cmp_eq_u32 s3, 0
	v_cmp_gt_u32_e64 s0, 32, v0
	s_cselect_b32 s18, ttmp9, s18
	s_wait_kmcnt 0x0
	v_mul_u64_e32 v[4:5], s[24:25], v[0:1]
	v_cndmask_b32_e64 v8, 0, 8, s2
	v_cmp_gt_u32_e64 s2, 28, v6
	v_cmp_gt_i32_e64 s3, s29, v0
	v_dual_lshlrev_b32 v1, 2, v2 :: v_dual_bitop2_b32 v11, 60, v7 bitop3:0x40
	s_lshl_b64 s[14:15], s[14:15], 2
	v_cndmask_b32_e64 v9, 0, 4, s2
	v_cmp_gt_u32_e64 s2, 30, v6
	s_ashr_i32 s19, s18, 31
	v_cmp_gt_u32_e64 s1, 16, v0
	v_lshl_or_b32 v10, v6, 2, 64
	v_add_lshl_u32 v12, v8, v6, 2
	v_cndmask_b32_e64 v14, 0, 2, s2
	v_cmp_ne_u32_e64 s2, 31, v6
	v_add_lshl_u32 v13, v9, v6, 2
	s_lshl_b64 s[22:23], s[18:19], 2
	s_mul_u64 s[26:27], s[24:25], s[18:19]
	v_add_lshl_u32 v14, v14, v6, 2
	v_add_co_ci_u32_e64 v15, null, 0, v6, s2
	v_cmp_eq_u32_e64 s2, 0, v2
	v_cndmask_b32_e64 v2, 0, v0, s3
	s_mul_u64 s[20:21], s[20:21], s[18:19]
	v_lshlrev_b32_e32 v15, 2, v15
	s_add_nc_u64 s[22:23], s[4:5], s[22:23]
	s_lshl_b64 s[24:25], s[24:25], 11
	v_lshlrev_b32_e32 v2, 2, v2
	s_lshl_b64 s[10:11], s[10:11], 2
	s_lshl_b64 s[26:27], s[26:27], 2
	v_cmp_eq_u32_e32 vcc_lo, 0, v0
	v_lshl_add_u64 v[4:5], v[4:5], 2, s[14:15]
	s_branch .LBB59_3
.LBB59_2:                               ;   in Loop: Header=BB59_3 Depth=1
	s_wait_xcnt 0x0
	s_or_b32 exec_lo, exec_lo, s4
	s_add_co_i32 s16, s16, 0x10000
	s_delay_alu instid0(SALU_CYCLE_1)
	s_cmp_lt_u32 s16, s28
	s_cbranch_scc0 .LBB59_21
.LBB59_3:                               ; =>This Loop Header: Depth=1
                                        ;     Child Loop BB59_15 Depth 2
	v_mov_b32_e32 v16, s16
	s_wait_dscnt 0x0
	s_clause 0x1
	global_load_b64 v[6:7], v16, s[8:9] scale_offset
	global_load_b64 v[8:9], v16, s[12:13] scale_offset
	s_wait_xcnt 0x0
	v_mov_b32_e32 v16, 0
	s_wait_loadcnt 0x1
	v_add_nc_u64_e32 v[6:7], s[10:11], v[6:7]
	s_delay_alu instid0(VALU_DEP_1) | instskip(NEXT) | instid1(VALU_DEP_1)
	v_add_nc_u64_e32 v[6:7], v[6:7], v[2:3]
	v_lshl_add_u64 v[6:7], s[20:21], 2, v[6:7]
	s_and_saveexec_b32 s4, vcc_lo
	s_cbranch_execnz .LBB59_12
; %bb.4:                                ;   in Loop: Header=BB59_3 Depth=1
	s_or_b32 exec_lo, exec_lo, s4
	s_and_saveexec_b32 s5, s3
	s_cbranch_execnz .LBB59_13
.LBB59_5:                               ;   in Loop: Header=BB59_3 Depth=1
	s_or_b32 exec_lo, exec_lo, s5
	s_and_saveexec_b32 s4, s0
.LBB59_6:                               ;   in Loop: Header=BB59_3 Depth=1
	ds_store_b32 v1, v3
.LBB59_7:                               ;   in Loop: Header=BB59_3 Depth=1
	s_or_b32 exec_lo, exec_lo, s4
	ds_bpermute_b32 v6, v10, v16
	s_wait_loadcnt_dscnt 0x0
	s_barrier_signal -1
	s_barrier_wait -1
	v_add_f32_e32 v6, v16, v6
	ds_bpermute_b32 v7, v12, v6
	s_wait_dscnt 0x0
	v_add_f32_e32 v6, v6, v7
	ds_bpermute_b32 v7, v13, v6
	s_wait_dscnt 0x0
	;; [unrolled: 3-line block ×3, first 2 shown]
	v_add_f32_e32 v6, v6, v7
	ds_bpermute_b32 v7, v15, v6
	s_and_saveexec_b32 s4, s2
	s_cbranch_execz .LBB59_9
; %bb.8:                                ;   in Loop: Header=BB59_3 Depth=1
	s_wait_dscnt 0x0
	v_add_f32_e32 v6, v6, v7
	ds_store_b32 v11, v6
.LBB59_9:                               ;   in Loop: Header=BB59_3 Depth=1
	s_or_b32 exec_lo, exec_lo, s4
	v_mov_b32_e32 v6, 0
	s_wait_dscnt 0x0
	s_barrier_signal -1
	s_barrier_wait -1
	s_and_saveexec_b32 s4, s1
	s_cbranch_execnz .LBB59_17
; %bb.10:                               ;   in Loop: Header=BB59_3 Depth=1
	s_or_b32 exec_lo, exec_lo, s4
	s_and_saveexec_b32 s4, s0
	s_cbranch_execnz .LBB59_18
.LBB59_11:                              ;   in Loop: Header=BB59_3 Depth=1
	s_or_b32 exec_lo, exec_lo, s4
	s_and_saveexec_b32 s4, vcc_lo
	s_cbranch_execz .LBB59_2
	s_branch .LBB59_19
.LBB59_12:                              ;   in Loop: Header=BB59_3 Depth=1
	s_wait_loadcnt 0x0
	v_add_nc_u64_e32 v[16:17], s[14:15], v[8:9]
	v_lshl_add_u64 v[18:19], s[18:19], 2, v[6:7]
	s_delay_alu instid0(VALU_DEP_2)
	v_add_nc_u64_e32 v[16:17], s[26:27], v[16:17]
	flat_load_b32 v20, v[18:19]
	flat_load_b32 v21, v[16:17]
	s_wait_loadcnt_dscnt 0x0
	s_wait_xcnt 0x0
	v_fma_f32 v16, v20, v21, 0
	s_or_b32 exec_lo, exec_lo, s4
	s_and_saveexec_b32 s5, s3
	s_cbranch_execz .LBB59_5
.LBB59_13:                              ;   in Loop: Header=BB59_3 Depth=1
	s_wait_loadcnt 0x0
	v_add_nc_u64_e32 v[8:9], v[8:9], v[4:5]
	v_mov_b32_e32 v17, v0
	s_mov_b32 s30, 0
	s_branch .LBB59_15
.LBB59_14:                              ;   in Loop: Header=BB59_15 Depth=2
	s_wait_xcnt 0x0
	s_or_b32 exec_lo, exec_lo, s31
	v_add_nc_u32_e32 v17, 0x200, v17
	v_add_nc_u64_e32 v[6:7], 0x800, v[6:7]
	v_add_nc_u64_e32 v[8:9], s[24:25], v[8:9]
	s_delay_alu instid0(VALU_DEP_3) | instskip(SKIP_1) | instid1(SALU_CYCLE_1)
	v_cmp_le_i32_e64 s4, s29, v17
	s_or_b32 s30, s4, s30
	s_and_not1_b32 exec_lo, exec_lo, s30
	s_cbranch_execz .LBB59_20
.LBB59_15:                              ;   Parent Loop BB59_3 Depth=1
                                        ; =>  This Inner Loop Header: Depth=2
	s_mov_b32 s31, exec_lo
	s_delay_alu instid0(VALU_DEP_1)
	v_cmpx_lt_i32_e64 s18, v17
	s_cbranch_execz .LBB59_14
; %bb.16:                               ;   in Loop: Header=BB59_15 Depth=2
	flat_load_b32 v18, v[6:7]
	flat_load_b32 v19, v[8:9]
	s_wait_loadcnt_dscnt 0x0
	v_fmac_f32_e32 v16, v18, v19
	s_branch .LBB59_14
.LBB59_17:                              ;   in Loop: Header=BB59_3 Depth=1
	ds_load_b32 v6, v1
	s_or_b32 exec_lo, exec_lo, s4
	s_and_saveexec_b32 s4, s0
	s_cbranch_execz .LBB59_11
.LBB59_18:                              ;   in Loop: Header=BB59_3 Depth=1
	s_wait_dscnt 0x0
	ds_bpermute_b32 v7, v12, v6
	s_wait_dscnt 0x0
	v_add_f32_e32 v6, v6, v7
	ds_bpermute_b32 v7, v13, v6
	s_wait_dscnt 0x0
	v_add_f32_e32 v6, v6, v7
	;; [unrolled: 3-line block ×4, first 2 shown]
	s_or_b32 exec_lo, exec_lo, s4
	s_and_saveexec_b32 s4, vcc_lo
	s_cbranch_execz .LBB59_2
.LBB59_19:                              ;   in Loop: Header=BB59_3 Depth=1
	s_mul_u64 s[30:31], s[6:7], s[16:17]
	s_delay_alu instid0(SALU_CYCLE_1) | instskip(NEXT) | instid1(SALU_CYCLE_1)
	s_lshl_b64 s[30:31], s[30:31], 2
	s_add_nc_u64 s[30:31], s[22:23], s[30:31]
	s_wait_dscnt 0x0
	global_store_b32 v3, v6, s[30:31]
	s_branch .LBB59_2
.LBB59_20:                              ;   in Loop: Header=BB59_3 Depth=1
	s_or_b32 exec_lo, exec_lo, s30
	s_delay_alu instid0(SALU_CYCLE_1)
	s_or_b32 exec_lo, exec_lo, s5
	s_and_saveexec_b32 s4, s0
	s_cbranch_execnz .LBB59_6
	s_branch .LBB59_7
.LBB59_21:
	s_endpgm
	.section	.rodata,"a",@progbits
	.p2align	6, 0x0
	.amdhsa_kernel _ZL20rocblas_trmvt_kernelILi512ELb1ELb1ELb0EPKPKfPKPfS4_EviT3_lllT4_lllT5_li
		.amdhsa_group_segment_fixed_size 128
		.amdhsa_private_segment_fixed_size 0
		.amdhsa_kernarg_size 92
		.amdhsa_user_sgpr_count 2
		.amdhsa_user_sgpr_dispatch_ptr 0
		.amdhsa_user_sgpr_queue_ptr 0
		.amdhsa_user_sgpr_kernarg_segment_ptr 1
		.amdhsa_user_sgpr_dispatch_id 0
		.amdhsa_user_sgpr_kernarg_preload_length 0
		.amdhsa_user_sgpr_kernarg_preload_offset 0
		.amdhsa_user_sgpr_private_segment_size 0
		.amdhsa_wavefront_size32 1
		.amdhsa_uses_dynamic_stack 0
		.amdhsa_enable_private_segment 0
		.amdhsa_system_sgpr_workgroup_id_x 1
		.amdhsa_system_sgpr_workgroup_id_y 0
		.amdhsa_system_sgpr_workgroup_id_z 1
		.amdhsa_system_sgpr_workgroup_info 0
		.amdhsa_system_vgpr_workitem_id 0
		.amdhsa_next_free_vgpr 22
		.amdhsa_next_free_sgpr 32
		.amdhsa_named_barrier_count 0
		.amdhsa_reserve_vcc 1
		.amdhsa_float_round_mode_32 0
		.amdhsa_float_round_mode_16_64 0
		.amdhsa_float_denorm_mode_32 3
		.amdhsa_float_denorm_mode_16_64 3
		.amdhsa_fp16_overflow 0
		.amdhsa_memory_ordered 1
		.amdhsa_forward_progress 1
		.amdhsa_inst_pref_size 9
		.amdhsa_round_robin_scheduling 0
		.amdhsa_exception_fp_ieee_invalid_op 0
		.amdhsa_exception_fp_denorm_src 0
		.amdhsa_exception_fp_ieee_div_zero 0
		.amdhsa_exception_fp_ieee_overflow 0
		.amdhsa_exception_fp_ieee_underflow 0
		.amdhsa_exception_fp_ieee_inexact 0
		.amdhsa_exception_int_div_zero 0
	.end_amdhsa_kernel
	.section	.text._ZL20rocblas_trmvt_kernelILi512ELb1ELb1ELb0EPKPKfPKPfS4_EviT3_lllT4_lllT5_li,"axG",@progbits,_ZL20rocblas_trmvt_kernelILi512ELb1ELb1ELb0EPKPKfPKPfS4_EviT3_lllT4_lllT5_li,comdat
.Lfunc_end59:
	.size	_ZL20rocblas_trmvt_kernelILi512ELb1ELb1ELb0EPKPKfPKPfS4_EviT3_lllT4_lllT5_li, .Lfunc_end59-_ZL20rocblas_trmvt_kernelILi512ELb1ELb1ELb0EPKPKfPKPfS4_EviT3_lllT4_lllT5_li
                                        ; -- End function
	.set _ZL20rocblas_trmvt_kernelILi512ELb1ELb1ELb0EPKPKfPKPfS4_EviT3_lllT4_lllT5_li.num_vgpr, 22
	.set _ZL20rocblas_trmvt_kernelILi512ELb1ELb1ELb0EPKPKfPKPfS4_EviT3_lllT4_lllT5_li.num_agpr, 0
	.set _ZL20rocblas_trmvt_kernelILi512ELb1ELb1ELb0EPKPKfPKPfS4_EviT3_lllT4_lllT5_li.numbered_sgpr, 32
	.set _ZL20rocblas_trmvt_kernelILi512ELb1ELb1ELb0EPKPKfPKPfS4_EviT3_lllT4_lllT5_li.num_named_barrier, 0
	.set _ZL20rocblas_trmvt_kernelILi512ELb1ELb1ELb0EPKPKfPKPfS4_EviT3_lllT4_lllT5_li.private_seg_size, 0
	.set _ZL20rocblas_trmvt_kernelILi512ELb1ELb1ELb0EPKPKfPKPfS4_EviT3_lllT4_lllT5_li.uses_vcc, 1
	.set _ZL20rocblas_trmvt_kernelILi512ELb1ELb1ELb0EPKPKfPKPfS4_EviT3_lllT4_lllT5_li.uses_flat_scratch, 0
	.set _ZL20rocblas_trmvt_kernelILi512ELb1ELb1ELb0EPKPKfPKPfS4_EviT3_lllT4_lllT5_li.has_dyn_sized_stack, 0
	.set _ZL20rocblas_trmvt_kernelILi512ELb1ELb1ELb0EPKPKfPKPfS4_EviT3_lllT4_lllT5_li.has_recursion, 0
	.set _ZL20rocblas_trmvt_kernelILi512ELb1ELb1ELb0EPKPKfPKPfS4_EviT3_lllT4_lllT5_li.has_indirect_call, 0
	.section	.AMDGPU.csdata,"",@progbits
; Kernel info:
; codeLenInByte = 1068
; TotalNumSgprs: 34
; NumVgprs: 22
; ScratchSize: 0
; MemoryBound: 0
; FloatMode: 240
; IeeeMode: 1
; LDSByteSize: 128 bytes/workgroup (compile time only)
; SGPRBlocks: 0
; VGPRBlocks: 1
; NumSGPRsForWavesPerEU: 34
; NumVGPRsForWavesPerEU: 22
; NamedBarCnt: 0
; Occupancy: 16
; WaveLimiterHint : 1
; COMPUTE_PGM_RSRC2:SCRATCH_EN: 0
; COMPUTE_PGM_RSRC2:USER_SGPR: 2
; COMPUTE_PGM_RSRC2:TRAP_HANDLER: 0
; COMPUTE_PGM_RSRC2:TGID_X_EN: 1
; COMPUTE_PGM_RSRC2:TGID_Y_EN: 0
; COMPUTE_PGM_RSRC2:TGID_Z_EN: 1
; COMPUTE_PGM_RSRC2:TIDIG_COMP_CNT: 0
	.section	.text._ZL20rocblas_trmvn_kernelILi64ELi16ELb0ELb1EPKPKdPKPdS4_EviT3_lllT4_lllT5_li,"axG",@progbits,_ZL20rocblas_trmvn_kernelILi64ELi16ELb0ELb1EPKPKdPKPdS4_EviT3_lllT4_lllT5_li,comdat
	.globl	_ZL20rocblas_trmvn_kernelILi64ELi16ELb0ELb1EPKPKdPKPdS4_EviT3_lllT4_lllT5_li ; -- Begin function _ZL20rocblas_trmvn_kernelILi64ELi16ELb0ELb1EPKPKdPKPdS4_EviT3_lllT4_lllT5_li
	.p2align	8
	.type	_ZL20rocblas_trmvn_kernelILi64ELi16ELb0ELb1EPKPKdPKPdS4_EviT3_lllT4_lllT5_li,@function
_ZL20rocblas_trmvn_kernelILi64ELi16ELb0ELb1EPKPKdPKPdS4_EviT3_lllT4_lllT5_li: ; @_ZL20rocblas_trmvn_kernelILi64ELi16ELb0ELb1EPKPKdPKPdS4_EviT3_lllT4_lllT5_li
; %bb.0:
	s_load_b32 s3, s[0:1], 0x58
	s_bfe_u32 s2, ttmp6, 0x40014
	s_lshr_b32 s4, ttmp7, 16
	s_add_co_i32 s2, s2, 1
	s_bfe_u32 s6, ttmp6, 0x40008
	s_mul_i32 s5, s4, s2
	s_getreg_b32 s2, hwreg(HW_REG_IB_STS2, 6, 4)
	s_add_co_i32 s6, s6, s5
	s_cmp_eq_u32 s2, 0
	s_mov_b32 s17, 0
	s_cselect_b32 s16, s4, s6
	s_wait_kmcnt 0x0
	s_cmp_ge_u32 s16, s3
	s_cbranch_scc1 .LBB60_14
; %bb.1:
	s_clause 0x2
	s_load_b32 s4, s[0:1], 0x6c
	s_load_b64 s[20:21], s[0:1], 0x18
	s_load_b64 s[22:23], s[0:1], 0x38
	s_bfe_u32 s5, ttmp6, 0x4000c
	s_and_b32 s6, ttmp6, 15
	s_add_co_i32 s5, s5, 1
	v_and_b32_e32 v12, 0x3ff, v0
	s_mul_i32 s5, ttmp9, s5
	v_bfe_u32 v2, v0, 10, 10
	s_add_co_i32 s8, s6, s5
	s_load_b128 s[12:15], s[0:1], 0x8
	s_delay_alu instid0(VALU_DEP_1)
	v_dual_lshlrev_b32 v15, 3, v12 :: v_dual_lshlrev_b32 v16, 9, v2
	s_wait_kmcnt 0x0
	s_and_b32 s19, s4, 0xffff
	s_cmp_eq_u32 s2, 0
	s_load_b128 s[4:7], s[0:1], 0x28
	s_cselect_b32 s2, ttmp9, s8
	s_clause 0x1
	s_load_b32 s18, s[0:1], 0x0
	s_load_b128 s[8:11], s[0:1], 0x48
	v_lshl_add_u32 v0, s2, 6, v12
	v_mov_b32_e32 v3, 0
	v_mad_u32_u24 v14, v2, s19, v12
	v_cmp_eq_u32_e64 s2, 0, v2
	s_delay_alu instid0(VALU_DEP_4) | instskip(NEXT) | instid1(VALU_DEP_4)
	v_ashrrev_i32_e32 v1, 31, v0
	v_mul_u64_e32 v[6:7], s[20:21], v[2:3]
	v_mul_u64_e32 v[10:11], s[22:23], v[2:3]
	v_mul_u32_u24_e32 v3, s19, v2
	s_wait_xcnt 0x0
	v_cmp_gt_u32_e64 s1, 64, v14
	v_mul_u64_e32 v[4:5], s[22:23], v[0:1]
	v_lshlrev_b64_e32 v[8:9], 3, v[0:1]
	s_lshl_b64 s[14:15], s[14:15], 3
	v_lshl_add_u32 v1, v3, 3, v15
	v_add_nc_u32_e32 v3, v15, v16
	s_wait_kmcnt 0x0
	s_lshl_b64 s[6:7], s[6:7], 3
	v_cmp_gt_i32_e32 vcc_lo, s18, v0
	v_cmp_gt_i32_e64 s0, s18, v2
	s_and_b32 s19, s2, vcc_lo
	v_lshl_add_u64 v[12:13], v[6:7], 3, s[14:15]
	v_add_nc_u64_e32 v[6:7], s[8:9], v[8:9]
	v_lshl_add_u64 v[10:11], v[10:11], 3, s[6:7]
	s_lshl_b64 s[8:9], s[22:23], 7
	s_lshl_b64 s[14:15], s[20:21], 7
	v_add_nc_u64_e32 v[8:9], v[12:13], v[8:9]
	s_branch .LBB60_3
.LBB60_2:                               ;   in Loop: Header=BB60_3 Depth=1
	s_wait_xcnt 0x0
	s_or_b32 exec_lo, exec_lo, s2
	s_add_co_i32 s16, s16, 0x10000
	s_delay_alu instid0(SALU_CYCLE_1)
	s_cmp_lt_u32 s16, s3
	s_cbranch_scc0 .LBB60_14
.LBB60_3:                               ; =>This Loop Header: Depth=1
                                        ;     Child Loop BB60_8 Depth 2
	v_mov_b32_e32 v12, s16
	s_clause 0x1
	global_load_b64 v[16:17], v12, s[12:13] scale_offset
	global_load_b64 v[14:15], v12, s[4:5] scale_offset
	s_wait_xcnt 0x0
	v_mov_b64_e32 v[12:13], 0
	s_and_saveexec_b32 s2, s19
	s_cbranch_execz .LBB60_5
; %bb.4:                                ;   in Loop: Header=BB60_3 Depth=1
	s_wait_loadcnt 0x0
	v_add_nc_u64_e32 v[12:13], s[6:7], v[14:15]
	s_delay_alu instid0(VALU_DEP_1)
	v_lshl_add_u64 v[12:13], v[4:5], 3, v[12:13]
	flat_load_b64 v[12:13], v[12:13]
.LBB60_5:                               ;   in Loop: Header=BB60_3 Depth=1
	s_wait_xcnt 0x0
	s_or_b32 exec_lo, exec_lo, s2
	s_and_saveexec_b32 s20, s0
	s_cbranch_execz .LBB60_11
; %bb.6:                                ;   in Loop: Header=BB60_3 Depth=1
	s_wait_loadcnt 0x0
	v_add_nc_u64_e32 v[14:15], v[14:15], v[10:11]
	v_add_nc_u64_e32 v[16:17], v[16:17], v[8:9]
	v_mov_b32_e32 v18, v2
	s_mov_b32 s21, 0
	s_branch .LBB60_8
.LBB60_7:                               ;   in Loop: Header=BB60_8 Depth=2
	s_wait_xcnt 0x0
	s_or_b32 exec_lo, exec_lo, s22
	v_add_nc_u32_e32 v18, 16, v18
	v_add_nc_u64_e32 v[14:15], s[8:9], v[14:15]
	v_add_nc_u64_e32 v[16:17], s[14:15], v[16:17]
	s_delay_alu instid0(VALU_DEP_3) | instskip(SKIP_1) | instid1(SALU_CYCLE_1)
	v_cmp_le_i32_e64 s2, s18, v18
	s_or_b32 s21, s2, s21
	s_and_not1_b32 exec_lo, exec_lo, s21
	s_cbranch_execz .LBB60_10
.LBB60_8:                               ;   Parent Loop BB60_3 Depth=1
                                        ; =>  This Inner Loop Header: Depth=2
	s_mov_b32 s22, exec_lo
	s_delay_alu instid0(VALU_DEP_1)
	v_cmpx_gt_i32_e64 v18, v0
	s_cbranch_execz .LBB60_7
; %bb.9:                                ;   in Loop: Header=BB60_8 Depth=2
	flat_load_b64 v[20:21], v[16:17]
	flat_load_b64 v[22:23], v[14:15]
	s_wait_loadcnt_dscnt 0x0
	v_fmac_f64_e32 v[12:13], v[20:21], v[22:23]
	s_branch .LBB60_7
.LBB60_10:                              ;   in Loop: Header=BB60_3 Depth=1
	s_or_b32 exec_lo, exec_lo, s21
.LBB60_11:                              ;   in Loop: Header=BB60_3 Depth=1
	s_delay_alu instid0(SALU_CYCLE_1)
	s_or_b32 exec_lo, exec_lo, s20
	s_wait_loadcnt_dscnt 0x0
	ds_store_b64 v3, v[12:13]
	s_wait_dscnt 0x0
	s_barrier_signal -1
	s_barrier_wait -1
	s_and_saveexec_b32 s2, s1
	s_cbranch_execz .LBB60_2
; %bb.12:                               ;   in Loop: Header=BB60_3 Depth=1
	ds_load_2addr_stride64_b64 v[12:15], v1 offset1:1
	ds_load_2addr_stride64_b64 v[16:19], v1 offset0:2 offset1:3
	s_wait_dscnt 0x1
	v_add_f64_e32 v[12:13], v[12:13], v[14:15]
	s_wait_dscnt 0x0
	s_delay_alu instid0(VALU_DEP_1) | instskip(NEXT) | instid1(VALU_DEP_1)
	v_add_f64_e32 v[12:13], v[16:17], v[12:13]
	v_add_f64_e32 v[20:21], v[18:19], v[12:13]
	ds_load_2addr_stride64_b64 v[12:15], v1 offset0:4 offset1:5
	ds_load_2addr_stride64_b64 v[16:19], v1 offset0:6 offset1:7
	s_wait_dscnt 0x1
	v_add_f64_e32 v[12:13], v[12:13], v[20:21]
	s_delay_alu instid0(VALU_DEP_1) | instskip(SKIP_1) | instid1(VALU_DEP_1)
	v_add_f64_e32 v[12:13], v[14:15], v[12:13]
	s_wait_dscnt 0x0
	v_add_f64_e32 v[12:13], v[16:17], v[12:13]
	s_delay_alu instid0(VALU_DEP_1) | instskip(SKIP_4) | instid1(VALU_DEP_1)
	v_add_f64_e32 v[20:21], v[18:19], v[12:13]
	ds_load_2addr_stride64_b64 v[12:15], v1 offset0:8 offset1:9
	ds_load_2addr_stride64_b64 v[16:19], v1 offset0:10 offset1:11
	s_wait_dscnt 0x1
	v_add_f64_e32 v[12:13], v[12:13], v[20:21]
	v_add_f64_e32 v[12:13], v[14:15], v[12:13]
	s_wait_dscnt 0x0
	s_delay_alu instid0(VALU_DEP_1) | instskip(NEXT) | instid1(VALU_DEP_1)
	v_add_f64_e32 v[12:13], v[16:17], v[12:13]
	v_add_f64_e32 v[20:21], v[18:19], v[12:13]
	ds_load_2addr_stride64_b64 v[12:15], v1 offset0:12 offset1:13
	ds_load_2addr_stride64_b64 v[16:19], v1 offset0:14 offset1:15
	s_wait_dscnt 0x1
	v_add_f64_e32 v[12:13], v[12:13], v[20:21]
	s_delay_alu instid0(VALU_DEP_1) | instskip(SKIP_1) | instid1(VALU_DEP_1)
	v_add_f64_e32 v[12:13], v[14:15], v[12:13]
	s_wait_dscnt 0x0
	v_add_f64_e32 v[12:13], v[16:17], v[12:13]
	s_delay_alu instid0(VALU_DEP_1)
	v_add_f64_e32 v[12:13], v[18:19], v[12:13]
	ds_store_b64 v1, v[12:13]
	s_and_b32 exec_lo, exec_lo, vcc_lo
	s_cbranch_execz .LBB60_2
; %bb.13:                               ;   in Loop: Header=BB60_3 Depth=1
	s_mul_u64 s[20:21], s[10:11], s[16:17]
	s_delay_alu instid0(SALU_CYCLE_1)
	v_lshl_add_u64 v[14:15], s[20:21], 3, v[6:7]
	global_store_b64 v[14:15], v[12:13], off
	s_branch .LBB60_2
.LBB60_14:
	s_endpgm
	.section	.rodata,"a",@progbits
	.p2align	6, 0x0
	.amdhsa_kernel _ZL20rocblas_trmvn_kernelILi64ELi16ELb0ELb1EPKPKdPKPdS4_EviT3_lllT4_lllT5_li
		.amdhsa_group_segment_fixed_size 8192
		.amdhsa_private_segment_fixed_size 0
		.amdhsa_kernarg_size 352
		.amdhsa_user_sgpr_count 2
		.amdhsa_user_sgpr_dispatch_ptr 0
		.amdhsa_user_sgpr_queue_ptr 0
		.amdhsa_user_sgpr_kernarg_segment_ptr 1
		.amdhsa_user_sgpr_dispatch_id 0
		.amdhsa_user_sgpr_kernarg_preload_length 0
		.amdhsa_user_sgpr_kernarg_preload_offset 0
		.amdhsa_user_sgpr_private_segment_size 0
		.amdhsa_wavefront_size32 1
		.amdhsa_uses_dynamic_stack 0
		.amdhsa_enable_private_segment 0
		.amdhsa_system_sgpr_workgroup_id_x 1
		.amdhsa_system_sgpr_workgroup_id_y 0
		.amdhsa_system_sgpr_workgroup_id_z 1
		.amdhsa_system_sgpr_workgroup_info 0
		.amdhsa_system_vgpr_workitem_id 1
		.amdhsa_next_free_vgpr 24
		.amdhsa_next_free_sgpr 24
		.amdhsa_named_barrier_count 0
		.amdhsa_reserve_vcc 1
		.amdhsa_float_round_mode_32 0
		.amdhsa_float_round_mode_16_64 0
		.amdhsa_float_denorm_mode_32 3
		.amdhsa_float_denorm_mode_16_64 3
		.amdhsa_fp16_overflow 0
		.amdhsa_memory_ordered 1
		.amdhsa_forward_progress 1
		.amdhsa_inst_pref_size 7
		.amdhsa_round_robin_scheduling 0
		.amdhsa_exception_fp_ieee_invalid_op 0
		.amdhsa_exception_fp_denorm_src 0
		.amdhsa_exception_fp_ieee_div_zero 0
		.amdhsa_exception_fp_ieee_overflow 0
		.amdhsa_exception_fp_ieee_underflow 0
		.amdhsa_exception_fp_ieee_inexact 0
		.amdhsa_exception_int_div_zero 0
	.end_amdhsa_kernel
	.section	.text._ZL20rocblas_trmvn_kernelILi64ELi16ELb0ELb1EPKPKdPKPdS4_EviT3_lllT4_lllT5_li,"axG",@progbits,_ZL20rocblas_trmvn_kernelILi64ELi16ELb0ELb1EPKPKdPKPdS4_EviT3_lllT4_lllT5_li,comdat
.Lfunc_end60:
	.size	_ZL20rocblas_trmvn_kernelILi64ELi16ELb0ELb1EPKPKdPKPdS4_EviT3_lllT4_lllT5_li, .Lfunc_end60-_ZL20rocblas_trmvn_kernelILi64ELi16ELb0ELb1EPKPKdPKPdS4_EviT3_lllT4_lllT5_li
                                        ; -- End function
	.set _ZL20rocblas_trmvn_kernelILi64ELi16ELb0ELb1EPKPKdPKPdS4_EviT3_lllT4_lllT5_li.num_vgpr, 24
	.set _ZL20rocblas_trmvn_kernelILi64ELi16ELb0ELb1EPKPKdPKPdS4_EviT3_lllT4_lllT5_li.num_agpr, 0
	.set _ZL20rocblas_trmvn_kernelILi64ELi16ELb0ELb1EPKPKdPKPdS4_EviT3_lllT4_lllT5_li.numbered_sgpr, 24
	.set _ZL20rocblas_trmvn_kernelILi64ELi16ELb0ELb1EPKPKdPKPdS4_EviT3_lllT4_lllT5_li.num_named_barrier, 0
	.set _ZL20rocblas_trmvn_kernelILi64ELi16ELb0ELb1EPKPKdPKPdS4_EviT3_lllT4_lllT5_li.private_seg_size, 0
	.set _ZL20rocblas_trmvn_kernelILi64ELi16ELb0ELb1EPKPKdPKPdS4_EviT3_lllT4_lllT5_li.uses_vcc, 1
	.set _ZL20rocblas_trmvn_kernelILi64ELi16ELb0ELb1EPKPKdPKPdS4_EviT3_lllT4_lllT5_li.uses_flat_scratch, 0
	.set _ZL20rocblas_trmvn_kernelILi64ELi16ELb0ELb1EPKPKdPKPdS4_EviT3_lllT4_lllT5_li.has_dyn_sized_stack, 0
	.set _ZL20rocblas_trmvn_kernelILi64ELi16ELb0ELb1EPKPKdPKPdS4_EviT3_lllT4_lllT5_li.has_recursion, 0
	.set _ZL20rocblas_trmvn_kernelILi64ELi16ELb0ELb1EPKPKdPKPdS4_EviT3_lllT4_lllT5_li.has_indirect_call, 0
	.section	.AMDGPU.csdata,"",@progbits
; Kernel info:
; codeLenInByte = 876
; TotalNumSgprs: 26
; NumVgprs: 24
; ScratchSize: 0
; MemoryBound: 1
; FloatMode: 240
; IeeeMode: 1
; LDSByteSize: 8192 bytes/workgroup (compile time only)
; SGPRBlocks: 0
; VGPRBlocks: 1
; NumSGPRsForWavesPerEU: 26
; NumVGPRsForWavesPerEU: 24
; NamedBarCnt: 0
; Occupancy: 16
; WaveLimiterHint : 1
; COMPUTE_PGM_RSRC2:SCRATCH_EN: 0
; COMPUTE_PGM_RSRC2:USER_SGPR: 2
; COMPUTE_PGM_RSRC2:TRAP_HANDLER: 0
; COMPUTE_PGM_RSRC2:TGID_X_EN: 1
; COMPUTE_PGM_RSRC2:TGID_Y_EN: 0
; COMPUTE_PGM_RSRC2:TGID_Z_EN: 1
; COMPUTE_PGM_RSRC2:TIDIG_COMP_CNT: 1
	.section	.text._ZL20rocblas_trmvt_kernelILi512ELb0ELb0ELb1EPKPKdPKPdS4_EviT3_lllT4_lllT5_li,"axG",@progbits,_ZL20rocblas_trmvt_kernelILi512ELb0ELb0ELb1EPKPKdPKPdS4_EviT3_lllT4_lllT5_li,comdat
	.globl	_ZL20rocblas_trmvt_kernelILi512ELb0ELb0ELb1EPKPKdPKPdS4_EviT3_lllT4_lllT5_li ; -- Begin function _ZL20rocblas_trmvt_kernelILi512ELb0ELb0ELb1EPKPKdPKPdS4_EviT3_lllT4_lllT5_li
	.p2align	8
	.type	_ZL20rocblas_trmvt_kernelILi512ELb0ELb0ELb1EPKPKdPKPdS4_EviT3_lllT4_lllT5_li,@function
_ZL20rocblas_trmvt_kernelILi512ELb0ELb0ELb1EPKPKdPKPdS4_EviT3_lllT4_lllT5_li: ; @_ZL20rocblas_trmvt_kernelILi512ELb0ELb0ELb1EPKPKdPKPdS4_EviT3_lllT4_lllT5_li
; %bb.0:
	s_load_b32 s28, s[0:1], 0x58
	s_bfe_u32 s2, ttmp6, 0x40014
	s_lshr_b32 s4, ttmp7, 16
	s_add_co_i32 s2, s2, 1
	s_bfe_u32 s5, ttmp6, 0x40008
	s_mul_i32 s2, s4, s2
	s_getreg_b32 s3, hwreg(HW_REG_IB_STS2, 6, 4)
	s_add_co_i32 s5, s5, s2
	s_cmp_eq_u32 s3, 0
	s_mov_b32 s17, 0
	s_cselect_b32 s16, s4, s5
	s_wait_kmcnt 0x0
	s_cmp_ge_u32 s16, s28
	s_cbranch_scc1 .LBB61_21
; %bb.1:
	s_clause 0x5
	s_load_b64 s[24:25], s[0:1], 0x38
	s_load_b32 s29, s[0:1], 0x0
	s_load_b128 s[8:11], s[0:1], 0x8
	s_load_b64 s[20:21], s[0:1], 0x18
	s_load_b128 s[12:15], s[0:1], 0x28
	s_load_b128 s[4:7], s[0:1], 0x48
	v_dual_mov_b32 v3, 0 :: v_dual_bitop2_b32 v2, 31, v0 bitop3:0x40
	v_mbcnt_lo_u32_b32 v8, -1, 0
	s_bfe_u32 s2, ttmp6, 0x4000c
	s_delay_alu instid0(VALU_DEP_2)
	v_dual_lshrrev_b32 v9, 2, v0 :: v_dual_mov_b32 v1, v3
	s_add_co_i32 s2, s2, 1
	s_and_b32 s18, ttmp6, 15
	s_mul_i32 s19, ttmp9, s2
	v_cmp_gt_u32_e64 s2, 24, v8
	s_add_co_i32 s18, s18, s19
	s_cmp_eq_u32 s3, 0
	v_mov_b64_e32 v[4:5], 0
	s_cselect_b32 s18, ttmp9, s18
	s_wait_kmcnt 0x0
	v_mul_u64_e32 v[6:7], s[24:25], v[0:1]
	v_cndmask_b32_e64 v10, 0, 8, s2
	v_cmp_gt_u32_e64 s2, 28, v8
	v_cmp_gt_i32_e64 s3, s29, v0
	s_lshl_b64 s[14:15], s[14:15], 3
	s_ashr_i32 s19, s18, 31
	v_cmp_gt_u32_e64 s0, 32, v0
	v_cndmask_b32_e64 v11, 0, 4, s2
	v_cmp_gt_u32_e64 s2, 30, v8
	v_cmp_gt_u32_e64 s1, 16, v0
	v_lshl_or_b32 v14, v8, 2, 64
	v_and_b32_e32 v15, 0x78, v9
	v_add_lshl_u32 v16, v10, v8, 2
	v_cndmask_b32_e64 v12, 0, 2, s2
	v_cmp_ne_u32_e64 s2, 31, v8
	v_add_lshl_u32 v17, v11, v8, 2
	s_lshl_b64 s[22:23], s[18:19], 3
	s_mul_u64 s[26:27], s[24:25], s[18:19]
	v_add_lshl_u32 v18, v12, v8, 2
	v_add_co_ci_u32_e64 v13, null, 0, v8, s2
	v_lshlrev_b32_e32 v1, 3, v2
	v_cmp_eq_u32_e64 s2, 0, v2
	s_delay_alu instid0(VALU_DEP_3) | instskip(SKIP_3) | instid1(VALU_DEP_1)
	v_dual_cndmask_b32 v2, 0, v0, s3 :: v_dual_lshlrev_b32 v19, 2, v13
	s_mul_u64 s[20:21], s[20:21], s[18:19]
	s_add_nc_u64 s[22:23], s[4:5], s[22:23]
	s_lshl_b64 s[24:25], s[24:25], 12
	v_lshlrev_b32_e32 v2, 3, v2
	s_lshl_b64 s[26:27], s[26:27], 3
	s_lshl_b64 s[10:11], s[10:11], 3
	v_cmp_eq_u32_e32 vcc_lo, 0, v0
	v_lshl_add_u64 v[6:7], v[6:7], 3, s[14:15]
	s_branch .LBB61_3
.LBB61_2:                               ;   in Loop: Header=BB61_3 Depth=1
	s_wait_xcnt 0x0
	s_or_b32 exec_lo, exec_lo, s4
	s_add_co_i32 s16, s16, 0x10000
	s_delay_alu instid0(SALU_CYCLE_1)
	s_cmp_lt_u32 s16, s28
	s_cbranch_scc0 .LBB61_21
.LBB61_3:                               ; =>This Loop Header: Depth=1
                                        ;     Child Loop BB61_15 Depth 2
	s_wait_dscnt 0x0
	v_mov_b32_e32 v8, s16
	s_clause 0x1
	global_load_b64 v[12:13], v8, s[8:9] scale_offset
	global_load_b64 v[10:11], v8, s[12:13] scale_offset
	s_wait_xcnt 0x0
	v_mov_b64_e32 v[8:9], 0
	s_and_saveexec_b32 s4, vcc_lo
	s_cbranch_execnz .LBB61_12
; %bb.4:                                ;   in Loop: Header=BB61_3 Depth=1
	s_or_b32 exec_lo, exec_lo, s4
	s_and_saveexec_b32 s5, s3
	s_cbranch_execnz .LBB61_13
.LBB61_5:                               ;   in Loop: Header=BB61_3 Depth=1
	s_or_b32 exec_lo, exec_lo, s5
	s_and_saveexec_b32 s4, s0
.LBB61_6:                               ;   in Loop: Header=BB61_3 Depth=1
	ds_store_b64 v1, v[4:5]
.LBB61_7:                               ;   in Loop: Header=BB61_3 Depth=1
	s_or_b32 exec_lo, exec_lo, s4
	s_wait_loadcnt 0x0
	ds_bpermute_b32 v10, v14, v8
	ds_bpermute_b32 v11, v14, v9
	s_wait_dscnt 0x0
	s_barrier_signal -1
	s_barrier_wait -1
	v_add_f64_e32 v[8:9], v[8:9], v[10:11]
	ds_bpermute_b32 v10, v16, v8
	ds_bpermute_b32 v11, v16, v9
	s_wait_dscnt 0x0
	v_add_f64_e32 v[8:9], v[8:9], v[10:11]
	ds_bpermute_b32 v10, v17, v8
	ds_bpermute_b32 v11, v17, v9
	s_wait_dscnt 0x0
	;; [unrolled: 4-line block ×3, first 2 shown]
	v_add_f64_e32 v[8:9], v[8:9], v[10:11]
	ds_bpermute_b32 v10, v19, v8
	ds_bpermute_b32 v11, v19, v9
	s_and_saveexec_b32 s4, s2
	s_cbranch_execz .LBB61_9
; %bb.8:                                ;   in Loop: Header=BB61_3 Depth=1
	s_wait_dscnt 0x0
	v_add_f64_e32 v[8:9], v[8:9], v[10:11]
	ds_store_b64 v15, v[8:9]
.LBB61_9:                               ;   in Loop: Header=BB61_3 Depth=1
	s_or_b32 exec_lo, exec_lo, s4
	v_mov_b64_e32 v[8:9], 0
	s_wait_dscnt 0x0
	s_barrier_signal -1
	s_barrier_wait -1
	s_and_saveexec_b32 s4, s1
	s_cbranch_execnz .LBB61_17
; %bb.10:                               ;   in Loop: Header=BB61_3 Depth=1
	s_or_b32 exec_lo, exec_lo, s4
	s_and_saveexec_b32 s4, s0
	s_cbranch_execnz .LBB61_18
.LBB61_11:                              ;   in Loop: Header=BB61_3 Depth=1
	s_or_b32 exec_lo, exec_lo, s4
	s_and_saveexec_b32 s4, vcc_lo
	s_cbranch_execz .LBB61_2
	s_branch .LBB61_19
.LBB61_12:                              ;   in Loop: Header=BB61_3 Depth=1
	s_wait_loadcnt 0x0
	v_add_nc_u64_e32 v[8:9], s[14:15], v[10:11]
	s_delay_alu instid0(VALU_DEP_1)
	v_add_nc_u64_e32 v[8:9], s[26:27], v[8:9]
	flat_load_b64 v[8:9], v[8:9]
	s_wait_loadcnt_dscnt 0x0
	s_wait_xcnt 0x0
	v_add_f64_e32 v[8:9], 0, v[8:9]
	s_or_b32 exec_lo, exec_lo, s4
	s_and_saveexec_b32 s5, s3
	s_cbranch_execz .LBB61_5
.LBB61_13:                              ;   in Loop: Header=BB61_3 Depth=1
	s_wait_loadcnt 0x1
	v_add_nc_u64_e32 v[12:13], s[10:11], v[12:13]
	s_wait_loadcnt 0x0
	v_add_nc_u64_e32 v[10:11], v[10:11], v[6:7]
	v_mov_b32_e32 v20, v0
	s_mov_b32 s19, 0
	s_delay_alu instid0(VALU_DEP_3) | instskip(NEXT) | instid1(VALU_DEP_1)
	v_add_nc_u64_e32 v[12:13], v[12:13], v[2:3]
	v_lshl_add_u64 v[12:13], s[20:21], 3, v[12:13]
	s_branch .LBB61_15
.LBB61_14:                              ;   in Loop: Header=BB61_15 Depth=2
	s_wait_xcnt 0x0
	s_or_b32 exec_lo, exec_lo, s30
	v_add_nc_u32_e32 v20, 0x200, v20
	v_add_nc_u64_e32 v[12:13], 0x1000, v[12:13]
	v_add_nc_u64_e32 v[10:11], s[24:25], v[10:11]
	s_delay_alu instid0(VALU_DEP_3) | instskip(SKIP_1) | instid1(SALU_CYCLE_1)
	v_cmp_le_i32_e64 s4, s29, v20
	s_or_b32 s19, s4, s19
	s_and_not1_b32 exec_lo, exec_lo, s19
	s_cbranch_execz .LBB61_20
.LBB61_15:                              ;   Parent Loop BB61_3 Depth=1
                                        ; =>  This Inner Loop Header: Depth=2
	s_mov_b32 s30, exec_lo
	v_cmpx_gt_i32_e64 s18, v20
	s_cbranch_execz .LBB61_14
; %bb.16:                               ;   in Loop: Header=BB61_15 Depth=2
	flat_load_b64 v[22:23], v[12:13]
	flat_load_b64 v[24:25], v[10:11]
	s_wait_loadcnt_dscnt 0x0
	v_fmac_f64_e32 v[8:9], v[22:23], v[24:25]
	s_branch .LBB61_14
.LBB61_17:                              ;   in Loop: Header=BB61_3 Depth=1
	ds_load_b64 v[8:9], v1
	s_or_b32 exec_lo, exec_lo, s4
	s_and_saveexec_b32 s4, s0
	s_cbranch_execz .LBB61_11
.LBB61_18:                              ;   in Loop: Header=BB61_3 Depth=1
	s_wait_dscnt 0x0
	ds_bpermute_b32 v10, v16, v8
	ds_bpermute_b32 v11, v16, v9
	s_wait_dscnt 0x0
	v_add_f64_e32 v[8:9], v[8:9], v[10:11]
	ds_bpermute_b32 v10, v17, v8
	ds_bpermute_b32 v11, v17, v9
	s_wait_dscnt 0x0
	v_add_f64_e32 v[8:9], v[8:9], v[10:11]
	;; [unrolled: 4-line block ×4, first 2 shown]
	s_or_b32 exec_lo, exec_lo, s4
	s_and_saveexec_b32 s4, vcc_lo
	s_cbranch_execz .LBB61_2
.LBB61_19:                              ;   in Loop: Header=BB61_3 Depth=1
	s_mul_u64 s[30:31], s[6:7], s[16:17]
	s_delay_alu instid0(SALU_CYCLE_1) | instskip(NEXT) | instid1(SALU_CYCLE_1)
	s_lshl_b64 s[30:31], s[30:31], 3
	s_add_nc_u64 s[30:31], s[22:23], s[30:31]
	s_wait_dscnt 0x0
	global_store_b64 v3, v[8:9], s[30:31]
	s_branch .LBB61_2
.LBB61_20:                              ;   in Loop: Header=BB61_3 Depth=1
	s_or_b32 exec_lo, exec_lo, s19
	s_delay_alu instid0(SALU_CYCLE_1)
	s_or_b32 exec_lo, exec_lo, s5
	s_and_saveexec_b32 s4, s0
	s_cbranch_execnz .LBB61_6
	s_branch .LBB61_7
.LBB61_21:
	s_endpgm
	.section	.rodata,"a",@progbits
	.p2align	6, 0x0
	.amdhsa_kernel _ZL20rocblas_trmvt_kernelILi512ELb0ELb0ELb1EPKPKdPKPdS4_EviT3_lllT4_lllT5_li
		.amdhsa_group_segment_fixed_size 256
		.amdhsa_private_segment_fixed_size 0
		.amdhsa_kernarg_size 92
		.amdhsa_user_sgpr_count 2
		.amdhsa_user_sgpr_dispatch_ptr 0
		.amdhsa_user_sgpr_queue_ptr 0
		.amdhsa_user_sgpr_kernarg_segment_ptr 1
		.amdhsa_user_sgpr_dispatch_id 0
		.amdhsa_user_sgpr_kernarg_preload_length 0
		.amdhsa_user_sgpr_kernarg_preload_offset 0
		.amdhsa_user_sgpr_private_segment_size 0
		.amdhsa_wavefront_size32 1
		.amdhsa_uses_dynamic_stack 0
		.amdhsa_enable_private_segment 0
		.amdhsa_system_sgpr_workgroup_id_x 1
		.amdhsa_system_sgpr_workgroup_id_y 0
		.amdhsa_system_sgpr_workgroup_id_z 1
		.amdhsa_system_sgpr_workgroup_info 0
		.amdhsa_system_vgpr_workitem_id 0
		.amdhsa_next_free_vgpr 26
		.amdhsa_next_free_sgpr 32
		.amdhsa_named_barrier_count 0
		.amdhsa_reserve_vcc 1
		.amdhsa_float_round_mode_32 0
		.amdhsa_float_round_mode_16_64 0
		.amdhsa_float_denorm_mode_32 3
		.amdhsa_float_denorm_mode_16_64 3
		.amdhsa_fp16_overflow 0
		.amdhsa_memory_ordered 1
		.amdhsa_forward_progress 1
		.amdhsa_inst_pref_size 9
		.amdhsa_round_robin_scheduling 0
		.amdhsa_exception_fp_ieee_invalid_op 0
		.amdhsa_exception_fp_denorm_src 0
		.amdhsa_exception_fp_ieee_div_zero 0
		.amdhsa_exception_fp_ieee_overflow 0
		.amdhsa_exception_fp_ieee_underflow 0
		.amdhsa_exception_fp_ieee_inexact 0
		.amdhsa_exception_int_div_zero 0
	.end_amdhsa_kernel
	.section	.text._ZL20rocblas_trmvt_kernelILi512ELb0ELb0ELb1EPKPKdPKPdS4_EviT3_lllT4_lllT5_li,"axG",@progbits,_ZL20rocblas_trmvt_kernelILi512ELb0ELb0ELb1EPKPKdPKPdS4_EviT3_lllT4_lllT5_li,comdat
.Lfunc_end61:
	.size	_ZL20rocblas_trmvt_kernelILi512ELb0ELb0ELb1EPKPKdPKPdS4_EviT3_lllT4_lllT5_li, .Lfunc_end61-_ZL20rocblas_trmvt_kernelILi512ELb0ELb0ELb1EPKPKdPKPdS4_EviT3_lllT4_lllT5_li
                                        ; -- End function
	.set _ZL20rocblas_trmvt_kernelILi512ELb0ELb0ELb1EPKPKdPKPdS4_EviT3_lllT4_lllT5_li.num_vgpr, 26
	.set _ZL20rocblas_trmvt_kernelILi512ELb0ELb0ELb1EPKPKdPKPdS4_EviT3_lllT4_lllT5_li.num_agpr, 0
	.set _ZL20rocblas_trmvt_kernelILi512ELb0ELb0ELb1EPKPKdPKPdS4_EviT3_lllT4_lllT5_li.numbered_sgpr, 32
	.set _ZL20rocblas_trmvt_kernelILi512ELb0ELb0ELb1EPKPKdPKPdS4_EviT3_lllT4_lllT5_li.num_named_barrier, 0
	.set _ZL20rocblas_trmvt_kernelILi512ELb0ELb0ELb1EPKPKdPKPdS4_EviT3_lllT4_lllT5_li.private_seg_size, 0
	.set _ZL20rocblas_trmvt_kernelILi512ELb0ELb0ELb1EPKPKdPKPdS4_EviT3_lllT4_lllT5_li.uses_vcc, 1
	.set _ZL20rocblas_trmvt_kernelILi512ELb0ELb0ELb1EPKPKdPKPdS4_EviT3_lllT4_lllT5_li.uses_flat_scratch, 0
	.set _ZL20rocblas_trmvt_kernelILi512ELb0ELb0ELb1EPKPKdPKPdS4_EviT3_lllT4_lllT5_li.has_dyn_sized_stack, 0
	.set _ZL20rocblas_trmvt_kernelILi512ELb0ELb0ELb1EPKPKdPKPdS4_EviT3_lllT4_lllT5_li.has_recursion, 0
	.set _ZL20rocblas_trmvt_kernelILi512ELb0ELb0ELb1EPKPKdPKPdS4_EviT3_lllT4_lllT5_li.has_indirect_call, 0
	.section	.AMDGPU.csdata,"",@progbits
; Kernel info:
; codeLenInByte = 1124
; TotalNumSgprs: 34
; NumVgprs: 26
; ScratchSize: 0
; MemoryBound: 1
; FloatMode: 240
; IeeeMode: 1
; LDSByteSize: 256 bytes/workgroup (compile time only)
; SGPRBlocks: 0
; VGPRBlocks: 1
; NumSGPRsForWavesPerEU: 34
; NumVGPRsForWavesPerEU: 26
; NamedBarCnt: 0
; Occupancy: 16
; WaveLimiterHint : 1
; COMPUTE_PGM_RSRC2:SCRATCH_EN: 0
; COMPUTE_PGM_RSRC2:USER_SGPR: 2
; COMPUTE_PGM_RSRC2:TRAP_HANDLER: 0
; COMPUTE_PGM_RSRC2:TGID_X_EN: 1
; COMPUTE_PGM_RSRC2:TGID_Y_EN: 0
; COMPUTE_PGM_RSRC2:TGID_Z_EN: 1
; COMPUTE_PGM_RSRC2:TIDIG_COMP_CNT: 0
	.section	.text._ZL20rocblas_trmvt_kernelILi512ELb0ELb1ELb1EPKPKdPKPdS4_EviT3_lllT4_lllT5_li,"axG",@progbits,_ZL20rocblas_trmvt_kernelILi512ELb0ELb1ELb1EPKPKdPKPdS4_EviT3_lllT4_lllT5_li,comdat
	.globl	_ZL20rocblas_trmvt_kernelILi512ELb0ELb1ELb1EPKPKdPKPdS4_EviT3_lllT4_lllT5_li ; -- Begin function _ZL20rocblas_trmvt_kernelILi512ELb0ELb1ELb1EPKPKdPKPdS4_EviT3_lllT4_lllT5_li
	.p2align	8
	.type	_ZL20rocblas_trmvt_kernelILi512ELb0ELb1ELb1EPKPKdPKPdS4_EviT3_lllT4_lllT5_li,@function
_ZL20rocblas_trmvt_kernelILi512ELb0ELb1ELb1EPKPKdPKPdS4_EviT3_lllT4_lllT5_li: ; @_ZL20rocblas_trmvt_kernelILi512ELb0ELb1ELb1EPKPKdPKPdS4_EviT3_lllT4_lllT5_li
; %bb.0:
	s_load_b32 s28, s[0:1], 0x58
	s_bfe_u32 s2, ttmp6, 0x40014
	s_lshr_b32 s4, ttmp7, 16
	s_add_co_i32 s2, s2, 1
	s_bfe_u32 s5, ttmp6, 0x40008
	s_mul_i32 s2, s4, s2
	s_getreg_b32 s3, hwreg(HW_REG_IB_STS2, 6, 4)
	s_add_co_i32 s5, s5, s2
	s_cmp_eq_u32 s3, 0
	s_mov_b32 s17, 0
	s_cselect_b32 s16, s4, s5
	s_wait_kmcnt 0x0
	s_cmp_ge_u32 s16, s28
	s_cbranch_scc1 .LBB62_21
; %bb.1:
	s_clause 0x5
	s_load_b64 s[24:25], s[0:1], 0x38
	s_load_b32 s29, s[0:1], 0x0
	s_load_b128 s[8:11], s[0:1], 0x8
	s_load_b64 s[20:21], s[0:1], 0x18
	s_load_b128 s[12:15], s[0:1], 0x28
	s_load_b128 s[4:7], s[0:1], 0x48
	v_dual_mov_b32 v3, 0 :: v_dual_bitop2_b32 v2, 31, v0 bitop3:0x40
	v_mbcnt_lo_u32_b32 v8, -1, 0
	s_bfe_u32 s2, ttmp6, 0x4000c
	s_delay_alu instid0(VALU_DEP_2)
	v_dual_lshrrev_b32 v9, 2, v0 :: v_dual_mov_b32 v1, v3
	s_add_co_i32 s2, s2, 1
	s_and_b32 s18, ttmp6, 15
	s_mul_i32 s19, ttmp9, s2
	v_cmp_gt_u32_e64 s2, 24, v8
	s_add_co_i32 s18, s18, s19
	s_cmp_eq_u32 s3, 0
	v_mov_b64_e32 v[4:5], 0
	s_cselect_b32 s18, ttmp9, s18
	s_wait_kmcnt 0x0
	v_mul_u64_e32 v[6:7], s[24:25], v[0:1]
	v_cndmask_b32_e64 v10, 0, 8, s2
	v_cmp_gt_u32_e64 s2, 28, v8
	v_cmp_gt_i32_e64 s3, s29, v0
	s_lshl_b64 s[14:15], s[14:15], 3
	s_ashr_i32 s19, s18, 31
	v_cmp_gt_u32_e64 s0, 32, v0
	v_cndmask_b32_e64 v11, 0, 4, s2
	v_cmp_gt_u32_e64 s2, 30, v8
	v_cmp_gt_u32_e64 s1, 16, v0
	v_lshl_or_b32 v14, v8, 2, 64
	v_and_b32_e32 v15, 0x78, v9
	v_add_lshl_u32 v16, v10, v8, 2
	v_cndmask_b32_e64 v12, 0, 2, s2
	v_cmp_ne_u32_e64 s2, 31, v8
	v_add_lshl_u32 v17, v11, v8, 2
	s_lshl_b64 s[22:23], s[18:19], 3
	s_mul_u64 s[26:27], s[24:25], s[18:19]
	v_add_lshl_u32 v18, v12, v8, 2
	v_add_co_ci_u32_e64 v13, null, 0, v8, s2
	v_lshlrev_b32_e32 v1, 3, v2
	v_cmp_eq_u32_e64 s2, 0, v2
	s_delay_alu instid0(VALU_DEP_3) | instskip(SKIP_3) | instid1(VALU_DEP_1)
	v_dual_cndmask_b32 v2, 0, v0, s3 :: v_dual_lshlrev_b32 v19, 2, v13
	s_mul_u64 s[20:21], s[20:21], s[18:19]
	s_add_nc_u64 s[22:23], s[4:5], s[22:23]
	s_lshl_b64 s[24:25], s[24:25], 12
	v_lshlrev_b32_e32 v2, 3, v2
	s_lshl_b64 s[26:27], s[26:27], 3
	s_lshl_b64 s[10:11], s[10:11], 3
	v_cmp_eq_u32_e32 vcc_lo, 0, v0
	v_lshl_add_u64 v[6:7], v[6:7], 3, s[14:15]
	s_branch .LBB62_3
.LBB62_2:                               ;   in Loop: Header=BB62_3 Depth=1
	s_wait_xcnt 0x0
	s_or_b32 exec_lo, exec_lo, s4
	s_add_co_i32 s16, s16, 0x10000
	s_delay_alu instid0(SALU_CYCLE_1)
	s_cmp_lt_u32 s16, s28
	s_cbranch_scc0 .LBB62_21
.LBB62_3:                               ; =>This Loop Header: Depth=1
                                        ;     Child Loop BB62_15 Depth 2
	s_wait_dscnt 0x0
	v_mov_b32_e32 v8, s16
	s_clause 0x1
	global_load_b64 v[12:13], v8, s[8:9] scale_offset
	global_load_b64 v[10:11], v8, s[12:13] scale_offset
	s_wait_xcnt 0x0
	v_mov_b64_e32 v[8:9], 0
	s_and_saveexec_b32 s4, vcc_lo
	s_cbranch_execnz .LBB62_12
; %bb.4:                                ;   in Loop: Header=BB62_3 Depth=1
	s_or_b32 exec_lo, exec_lo, s4
	s_and_saveexec_b32 s5, s3
	s_cbranch_execnz .LBB62_13
.LBB62_5:                               ;   in Loop: Header=BB62_3 Depth=1
	s_or_b32 exec_lo, exec_lo, s5
	s_and_saveexec_b32 s4, s0
.LBB62_6:                               ;   in Loop: Header=BB62_3 Depth=1
	ds_store_b64 v1, v[4:5]
.LBB62_7:                               ;   in Loop: Header=BB62_3 Depth=1
	s_or_b32 exec_lo, exec_lo, s4
	s_wait_loadcnt 0x0
	ds_bpermute_b32 v10, v14, v8
	ds_bpermute_b32 v11, v14, v9
	s_wait_dscnt 0x0
	s_barrier_signal -1
	s_barrier_wait -1
	v_add_f64_e32 v[8:9], v[8:9], v[10:11]
	ds_bpermute_b32 v10, v16, v8
	ds_bpermute_b32 v11, v16, v9
	s_wait_dscnt 0x0
	v_add_f64_e32 v[8:9], v[8:9], v[10:11]
	ds_bpermute_b32 v10, v17, v8
	ds_bpermute_b32 v11, v17, v9
	s_wait_dscnt 0x0
	;; [unrolled: 4-line block ×3, first 2 shown]
	v_add_f64_e32 v[8:9], v[8:9], v[10:11]
	ds_bpermute_b32 v10, v19, v8
	ds_bpermute_b32 v11, v19, v9
	s_and_saveexec_b32 s4, s2
	s_cbranch_execz .LBB62_9
; %bb.8:                                ;   in Loop: Header=BB62_3 Depth=1
	s_wait_dscnt 0x0
	v_add_f64_e32 v[8:9], v[8:9], v[10:11]
	ds_store_b64 v15, v[8:9]
.LBB62_9:                               ;   in Loop: Header=BB62_3 Depth=1
	s_or_b32 exec_lo, exec_lo, s4
	v_mov_b64_e32 v[8:9], 0
	s_wait_dscnt 0x0
	s_barrier_signal -1
	s_barrier_wait -1
	s_and_saveexec_b32 s4, s1
	s_cbranch_execnz .LBB62_17
; %bb.10:                               ;   in Loop: Header=BB62_3 Depth=1
	s_or_b32 exec_lo, exec_lo, s4
	s_and_saveexec_b32 s4, s0
	s_cbranch_execnz .LBB62_18
.LBB62_11:                              ;   in Loop: Header=BB62_3 Depth=1
	s_or_b32 exec_lo, exec_lo, s4
	s_and_saveexec_b32 s4, vcc_lo
	s_cbranch_execz .LBB62_2
	s_branch .LBB62_19
.LBB62_12:                              ;   in Loop: Header=BB62_3 Depth=1
	s_wait_loadcnt 0x0
	v_add_nc_u64_e32 v[8:9], s[14:15], v[10:11]
	s_delay_alu instid0(VALU_DEP_1)
	v_add_nc_u64_e32 v[8:9], s[26:27], v[8:9]
	flat_load_b64 v[8:9], v[8:9]
	s_wait_loadcnt_dscnt 0x0
	s_wait_xcnt 0x0
	v_add_f64_e32 v[8:9], 0, v[8:9]
	s_or_b32 exec_lo, exec_lo, s4
	s_and_saveexec_b32 s5, s3
	s_cbranch_execz .LBB62_5
.LBB62_13:                              ;   in Loop: Header=BB62_3 Depth=1
	s_wait_loadcnt 0x1
	v_add_nc_u64_e32 v[12:13], s[10:11], v[12:13]
	s_wait_loadcnt 0x0
	v_add_nc_u64_e32 v[10:11], v[10:11], v[6:7]
	v_mov_b32_e32 v20, v0
	s_mov_b32 s19, 0
	s_delay_alu instid0(VALU_DEP_3) | instskip(NEXT) | instid1(VALU_DEP_1)
	v_add_nc_u64_e32 v[12:13], v[12:13], v[2:3]
	v_lshl_add_u64 v[12:13], s[20:21], 3, v[12:13]
	s_branch .LBB62_15
.LBB62_14:                              ;   in Loop: Header=BB62_15 Depth=2
	s_wait_xcnt 0x0
	s_or_b32 exec_lo, exec_lo, s30
	v_add_nc_u32_e32 v20, 0x200, v20
	v_add_nc_u64_e32 v[12:13], 0x1000, v[12:13]
	v_add_nc_u64_e32 v[10:11], s[24:25], v[10:11]
	s_delay_alu instid0(VALU_DEP_3) | instskip(SKIP_1) | instid1(SALU_CYCLE_1)
	v_cmp_le_i32_e64 s4, s29, v20
	s_or_b32 s19, s4, s19
	s_and_not1_b32 exec_lo, exec_lo, s19
	s_cbranch_execz .LBB62_20
.LBB62_15:                              ;   Parent Loop BB62_3 Depth=1
                                        ; =>  This Inner Loop Header: Depth=2
	s_mov_b32 s30, exec_lo
	v_cmpx_gt_i32_e64 s18, v20
	s_cbranch_execz .LBB62_14
; %bb.16:                               ;   in Loop: Header=BB62_15 Depth=2
	flat_load_b64 v[22:23], v[12:13]
	flat_load_b64 v[24:25], v[10:11]
	s_wait_loadcnt_dscnt 0x0
	v_fmac_f64_e32 v[8:9], v[22:23], v[24:25]
	s_branch .LBB62_14
.LBB62_17:                              ;   in Loop: Header=BB62_3 Depth=1
	ds_load_b64 v[8:9], v1
	s_or_b32 exec_lo, exec_lo, s4
	s_and_saveexec_b32 s4, s0
	s_cbranch_execz .LBB62_11
.LBB62_18:                              ;   in Loop: Header=BB62_3 Depth=1
	s_wait_dscnt 0x0
	ds_bpermute_b32 v10, v16, v8
	ds_bpermute_b32 v11, v16, v9
	s_wait_dscnt 0x0
	v_add_f64_e32 v[8:9], v[8:9], v[10:11]
	ds_bpermute_b32 v10, v17, v8
	ds_bpermute_b32 v11, v17, v9
	s_wait_dscnt 0x0
	v_add_f64_e32 v[8:9], v[8:9], v[10:11]
	ds_bpermute_b32 v10, v18, v8
	ds_bpermute_b32 v11, v18, v9
	s_wait_dscnt 0x0
	v_add_f64_e32 v[8:9], v[8:9], v[10:11]
	ds_bpermute_b32 v10, v19, v8
	ds_bpermute_b32 v11, v19, v9
	s_wait_dscnt 0x0
	v_add_f64_e32 v[8:9], v[8:9], v[10:11]
	s_or_b32 exec_lo, exec_lo, s4
	s_and_saveexec_b32 s4, vcc_lo
	s_cbranch_execz .LBB62_2
.LBB62_19:                              ;   in Loop: Header=BB62_3 Depth=1
	s_mul_u64 s[30:31], s[6:7], s[16:17]
	s_delay_alu instid0(SALU_CYCLE_1) | instskip(NEXT) | instid1(SALU_CYCLE_1)
	s_lshl_b64 s[30:31], s[30:31], 3
	s_add_nc_u64 s[30:31], s[22:23], s[30:31]
	s_wait_dscnt 0x0
	global_store_b64 v3, v[8:9], s[30:31]
	s_branch .LBB62_2
.LBB62_20:                              ;   in Loop: Header=BB62_3 Depth=1
	s_or_b32 exec_lo, exec_lo, s19
	s_delay_alu instid0(SALU_CYCLE_1)
	s_or_b32 exec_lo, exec_lo, s5
	s_and_saveexec_b32 s4, s0
	s_cbranch_execnz .LBB62_6
	s_branch .LBB62_7
.LBB62_21:
	s_endpgm
	.section	.rodata,"a",@progbits
	.p2align	6, 0x0
	.amdhsa_kernel _ZL20rocblas_trmvt_kernelILi512ELb0ELb1ELb1EPKPKdPKPdS4_EviT3_lllT4_lllT5_li
		.amdhsa_group_segment_fixed_size 256
		.amdhsa_private_segment_fixed_size 0
		.amdhsa_kernarg_size 92
		.amdhsa_user_sgpr_count 2
		.amdhsa_user_sgpr_dispatch_ptr 0
		.amdhsa_user_sgpr_queue_ptr 0
		.amdhsa_user_sgpr_kernarg_segment_ptr 1
		.amdhsa_user_sgpr_dispatch_id 0
		.amdhsa_user_sgpr_kernarg_preload_length 0
		.amdhsa_user_sgpr_kernarg_preload_offset 0
		.amdhsa_user_sgpr_private_segment_size 0
		.amdhsa_wavefront_size32 1
		.amdhsa_uses_dynamic_stack 0
		.amdhsa_enable_private_segment 0
		.amdhsa_system_sgpr_workgroup_id_x 1
		.amdhsa_system_sgpr_workgroup_id_y 0
		.amdhsa_system_sgpr_workgroup_id_z 1
		.amdhsa_system_sgpr_workgroup_info 0
		.amdhsa_system_vgpr_workitem_id 0
		.amdhsa_next_free_vgpr 26
		.amdhsa_next_free_sgpr 32
		.amdhsa_named_barrier_count 0
		.amdhsa_reserve_vcc 1
		.amdhsa_float_round_mode_32 0
		.amdhsa_float_round_mode_16_64 0
		.amdhsa_float_denorm_mode_32 3
		.amdhsa_float_denorm_mode_16_64 3
		.amdhsa_fp16_overflow 0
		.amdhsa_memory_ordered 1
		.amdhsa_forward_progress 1
		.amdhsa_inst_pref_size 9
		.amdhsa_round_robin_scheduling 0
		.amdhsa_exception_fp_ieee_invalid_op 0
		.amdhsa_exception_fp_denorm_src 0
		.amdhsa_exception_fp_ieee_div_zero 0
		.amdhsa_exception_fp_ieee_overflow 0
		.amdhsa_exception_fp_ieee_underflow 0
		.amdhsa_exception_fp_ieee_inexact 0
		.amdhsa_exception_int_div_zero 0
	.end_amdhsa_kernel
	.section	.text._ZL20rocblas_trmvt_kernelILi512ELb0ELb1ELb1EPKPKdPKPdS4_EviT3_lllT4_lllT5_li,"axG",@progbits,_ZL20rocblas_trmvt_kernelILi512ELb0ELb1ELb1EPKPKdPKPdS4_EviT3_lllT4_lllT5_li,comdat
.Lfunc_end62:
	.size	_ZL20rocblas_trmvt_kernelILi512ELb0ELb1ELb1EPKPKdPKPdS4_EviT3_lllT4_lllT5_li, .Lfunc_end62-_ZL20rocblas_trmvt_kernelILi512ELb0ELb1ELb1EPKPKdPKPdS4_EviT3_lllT4_lllT5_li
                                        ; -- End function
	.set _ZL20rocblas_trmvt_kernelILi512ELb0ELb1ELb1EPKPKdPKPdS4_EviT3_lllT4_lllT5_li.num_vgpr, 26
	.set _ZL20rocblas_trmvt_kernelILi512ELb0ELb1ELb1EPKPKdPKPdS4_EviT3_lllT4_lllT5_li.num_agpr, 0
	.set _ZL20rocblas_trmvt_kernelILi512ELb0ELb1ELb1EPKPKdPKPdS4_EviT3_lllT4_lllT5_li.numbered_sgpr, 32
	.set _ZL20rocblas_trmvt_kernelILi512ELb0ELb1ELb1EPKPKdPKPdS4_EviT3_lllT4_lllT5_li.num_named_barrier, 0
	.set _ZL20rocblas_trmvt_kernelILi512ELb0ELb1ELb1EPKPKdPKPdS4_EviT3_lllT4_lllT5_li.private_seg_size, 0
	.set _ZL20rocblas_trmvt_kernelILi512ELb0ELb1ELb1EPKPKdPKPdS4_EviT3_lllT4_lllT5_li.uses_vcc, 1
	.set _ZL20rocblas_trmvt_kernelILi512ELb0ELb1ELb1EPKPKdPKPdS4_EviT3_lllT4_lllT5_li.uses_flat_scratch, 0
	.set _ZL20rocblas_trmvt_kernelILi512ELb0ELb1ELb1EPKPKdPKPdS4_EviT3_lllT4_lllT5_li.has_dyn_sized_stack, 0
	.set _ZL20rocblas_trmvt_kernelILi512ELb0ELb1ELb1EPKPKdPKPdS4_EviT3_lllT4_lllT5_li.has_recursion, 0
	.set _ZL20rocblas_trmvt_kernelILi512ELb0ELb1ELb1EPKPKdPKPdS4_EviT3_lllT4_lllT5_li.has_indirect_call, 0
	.section	.AMDGPU.csdata,"",@progbits
; Kernel info:
; codeLenInByte = 1124
; TotalNumSgprs: 34
; NumVgprs: 26
; ScratchSize: 0
; MemoryBound: 1
; FloatMode: 240
; IeeeMode: 1
; LDSByteSize: 256 bytes/workgroup (compile time only)
; SGPRBlocks: 0
; VGPRBlocks: 1
; NumSGPRsForWavesPerEU: 34
; NumVGPRsForWavesPerEU: 26
; NamedBarCnt: 0
; Occupancy: 16
; WaveLimiterHint : 1
; COMPUTE_PGM_RSRC2:SCRATCH_EN: 0
; COMPUTE_PGM_RSRC2:USER_SGPR: 2
; COMPUTE_PGM_RSRC2:TRAP_HANDLER: 0
; COMPUTE_PGM_RSRC2:TGID_X_EN: 1
; COMPUTE_PGM_RSRC2:TGID_Y_EN: 0
; COMPUTE_PGM_RSRC2:TGID_Z_EN: 1
; COMPUTE_PGM_RSRC2:TIDIG_COMP_CNT: 0
	.section	.text._ZL20rocblas_trmvn_kernelILi64ELi16ELb0ELb0EPKPKdPKPdS4_EviT3_lllT4_lllT5_li,"axG",@progbits,_ZL20rocblas_trmvn_kernelILi64ELi16ELb0ELb0EPKPKdPKPdS4_EviT3_lllT4_lllT5_li,comdat
	.globl	_ZL20rocblas_trmvn_kernelILi64ELi16ELb0ELb0EPKPKdPKPdS4_EviT3_lllT4_lllT5_li ; -- Begin function _ZL20rocblas_trmvn_kernelILi64ELi16ELb0ELb0EPKPKdPKPdS4_EviT3_lllT4_lllT5_li
	.p2align	8
	.type	_ZL20rocblas_trmvn_kernelILi64ELi16ELb0ELb0EPKPKdPKPdS4_EviT3_lllT4_lllT5_li,@function
_ZL20rocblas_trmvn_kernelILi64ELi16ELb0ELb0EPKPKdPKPdS4_EviT3_lllT4_lllT5_li: ; @_ZL20rocblas_trmvn_kernelILi64ELi16ELb0ELb0EPKPKdPKPdS4_EviT3_lllT4_lllT5_li
; %bb.0:
	s_load_b32 s3, s[0:1], 0x58
	s_bfe_u32 s2, ttmp6, 0x40014
	s_lshr_b32 s4, ttmp7, 16
	s_add_co_i32 s2, s2, 1
	s_bfe_u32 s6, ttmp6, 0x40008
	s_mul_i32 s5, s4, s2
	s_getreg_b32 s2, hwreg(HW_REG_IB_STS2, 6, 4)
	s_add_co_i32 s6, s6, s5
	s_cmp_eq_u32 s2, 0
	s_mov_b32 s17, 0
	s_cselect_b32 s16, s4, s6
	s_wait_kmcnt 0x0
	s_cmp_ge_u32 s16, s3
	s_cbranch_scc1 .LBB63_14
; %bb.1:
	s_clause 0x2
	s_load_b32 s4, s[0:1], 0x6c
	s_load_b64 s[18:19], s[0:1], 0x18
	s_load_b64 s[22:23], s[0:1], 0x38
	s_bfe_u32 s5, ttmp6, 0x4000c
	s_and_b32 s6, ttmp6, 15
	s_add_co_i32 s5, s5, 1
	v_and_b32_e32 v10, 0x3ff, v0
	s_mul_i32 s5, ttmp9, s5
	v_bfe_u32 v2, v0, 10, 10
	s_add_co_i32 s8, s6, s5
	s_load_b128 s[12:15], s[0:1], 0x8
	v_lshlrev_b32_e32 v16, 3, v10
	s_delay_alu instid0(VALU_DEP_2)
	v_lshlrev_b32_e32 v17, 9, v2
	s_wait_kmcnt 0x0
	s_and_b32 s21, s4, 0xffff
	s_cmp_eq_u32 s2, 0
	s_load_b128 s[4:7], s[0:1], 0x28
	s_cselect_b32 s2, ttmp9, s8
	s_clause 0x1
	s_load_b32 s20, s[0:1], 0x0
	s_load_b128 s[8:11], s[0:1], 0x48
	v_lshl_add_u32 v0, s2, 6, v10
	v_mov_b32_e32 v3, 0
	v_mad_u32_u24 v19, v2, s21, v10
	v_mul_u32_u24_e32 v18, s21, v2
	v_cmp_eq_u32_e64 s2, 0, v2
	v_ashrrev_i32_e32 v1, 31, v0
	v_mul_u64_e32 v[8:9], s[18:19], v[2:3]
	v_mul_u64_e32 v[12:13], s[22:23], v[2:3]
	s_wait_xcnt 0x0
	v_cmp_gt_u32_e64 s1, 64, v19
	s_lshl_b64 s[14:15], s[14:15], 3
	v_mad_nc_u64_u32 v[4:5], v0, s18, v[0:1]
	v_mul_u64_e32 v[6:7], s[22:23], v[0:1]
	v_lshlrev_b64_e32 v[10:11], 3, v[0:1]
	s_wait_kmcnt 0x0
	s_lshl_b64 s[6:7], s[6:7], 3
	v_cmp_gt_i32_e64 s0, s20, v0
	v_cmp_gt_i32_e32 vcc_lo, s20, v2
	v_mad_u32 v3, v1, s18, v5
	v_lshl_add_u32 v1, v18, 3, v16
	s_and_b32 s21, s2, s0
	s_delay_alu instid0(VALU_DEP_2)
	v_mad_u32 v5, v0, s19, v3
	v_add_nc_u32_e32 v3, v16, v17
	s_lshl_b64 s[18:19], s[18:19], 7
	v_lshl_add_u64 v[14:15], v[8:9], 3, s[14:15]
	v_add_nc_u64_e32 v[8:9], s[8:9], v[10:11]
	v_lshl_add_u64 v[12:13], v[12:13], 3, s[6:7]
	s_lshl_b64 s[8:9], s[22:23], 7
	s_delay_alu instid0(VALU_DEP_3)
	v_add_nc_u64_e32 v[10:11], v[14:15], v[10:11]
	s_branch .LBB63_3
.LBB63_2:                               ;   in Loop: Header=BB63_3 Depth=1
	s_wait_xcnt 0x0
	s_or_b32 exec_lo, exec_lo, s2
	s_add_co_i32 s16, s16, 0x10000
	s_delay_alu instid0(SALU_CYCLE_1)
	s_cmp_lt_u32 s16, s3
	s_cbranch_scc0 .LBB63_14
.LBB63_3:                               ; =>This Loop Header: Depth=1
                                        ;     Child Loop BB63_8 Depth 2
	v_mov_b32_e32 v14, s16
	s_clause 0x1
	global_load_b64 v[18:19], v14, s[12:13] scale_offset
	global_load_b64 v[16:17], v14, s[4:5] scale_offset
	s_wait_xcnt 0x0
	v_mov_b64_e32 v[14:15], 0
	s_and_saveexec_b32 s2, s21
	s_cbranch_execz .LBB63_5
; %bb.4:                                ;   in Loop: Header=BB63_3 Depth=1
	s_wait_loadcnt 0x1
	v_add_nc_u64_e32 v[14:15], s[14:15], v[18:19]
	s_wait_loadcnt 0x0
	v_add_nc_u64_e32 v[20:21], s[6:7], v[16:17]
	s_delay_alu instid0(VALU_DEP_2) | instskip(NEXT) | instid1(VALU_DEP_2)
	v_lshl_add_u64 v[14:15], v[4:5], 3, v[14:15]
	v_lshl_add_u64 v[20:21], v[6:7], 3, v[20:21]
	flat_load_b64 v[22:23], v[14:15]
	flat_load_b64 v[24:25], v[20:21]
	s_wait_loadcnt_dscnt 0x0
	s_wait_xcnt 0x1
	v_mul_f64_e32 v[14:15], v[22:23], v[24:25]
.LBB63_5:                               ;   in Loop: Header=BB63_3 Depth=1
	s_wait_xcnt 0x0
	s_or_b32 exec_lo, exec_lo, s2
	s_and_saveexec_b32 s22, vcc_lo
	s_cbranch_execz .LBB63_11
; %bb.6:                                ;   in Loop: Header=BB63_3 Depth=1
	s_wait_loadcnt 0x0
	v_add_nc_u64_e32 v[16:17], v[16:17], v[12:13]
	v_add_nc_u64_e32 v[18:19], v[18:19], v[10:11]
	v_mov_b32_e32 v20, v2
	s_mov_b32 s23, 0
	s_branch .LBB63_8
.LBB63_7:                               ;   in Loop: Header=BB63_8 Depth=2
	s_wait_xcnt 0x0
	s_or_b32 exec_lo, exec_lo, s24
	v_add_nc_u32_e32 v20, 16, v20
	v_add_nc_u64_e32 v[16:17], s[8:9], v[16:17]
	v_add_nc_u64_e32 v[18:19], s[18:19], v[18:19]
	s_delay_alu instid0(VALU_DEP_3) | instskip(SKIP_1) | instid1(SALU_CYCLE_1)
	v_cmp_le_i32_e64 s2, s20, v20
	s_or_b32 s23, s2, s23
	s_and_not1_b32 exec_lo, exec_lo, s23
	s_cbranch_execz .LBB63_10
.LBB63_8:                               ;   Parent Loop BB63_3 Depth=1
                                        ; =>  This Inner Loop Header: Depth=2
	s_mov_b32 s24, exec_lo
	s_delay_alu instid0(VALU_DEP_1)
	v_cmpx_gt_i32_e64 v20, v0
	s_cbranch_execz .LBB63_7
; %bb.9:                                ;   in Loop: Header=BB63_8 Depth=2
	flat_load_b64 v[22:23], v[18:19]
	flat_load_b64 v[24:25], v[16:17]
	s_wait_loadcnt_dscnt 0x0
	v_fmac_f64_e32 v[14:15], v[22:23], v[24:25]
	s_branch .LBB63_7
.LBB63_10:                              ;   in Loop: Header=BB63_3 Depth=1
	s_or_b32 exec_lo, exec_lo, s23
.LBB63_11:                              ;   in Loop: Header=BB63_3 Depth=1
	s_delay_alu instid0(SALU_CYCLE_1)
	s_or_b32 exec_lo, exec_lo, s22
	ds_store_b64 v3, v[14:15]
	s_wait_loadcnt_dscnt 0x0
	s_barrier_signal -1
	s_barrier_wait -1
	s_and_saveexec_b32 s2, s1
	s_cbranch_execz .LBB63_2
; %bb.12:                               ;   in Loop: Header=BB63_3 Depth=1
	ds_load_2addr_stride64_b64 v[14:17], v1 offset1:1
	ds_load_2addr_stride64_b64 v[18:21], v1 offset0:2 offset1:3
	s_wait_dscnt 0x1
	v_add_f64_e32 v[14:15], v[14:15], v[16:17]
	s_wait_dscnt 0x0
	s_delay_alu instid0(VALU_DEP_1) | instskip(NEXT) | instid1(VALU_DEP_1)
	v_add_f64_e32 v[14:15], v[18:19], v[14:15]
	v_add_f64_e32 v[22:23], v[20:21], v[14:15]
	ds_load_2addr_stride64_b64 v[14:17], v1 offset0:4 offset1:5
	ds_load_2addr_stride64_b64 v[18:21], v1 offset0:6 offset1:7
	s_wait_dscnt 0x1
	v_add_f64_e32 v[14:15], v[14:15], v[22:23]
	s_delay_alu instid0(VALU_DEP_1) | instskip(SKIP_1) | instid1(VALU_DEP_1)
	v_add_f64_e32 v[14:15], v[16:17], v[14:15]
	s_wait_dscnt 0x0
	v_add_f64_e32 v[14:15], v[18:19], v[14:15]
	s_delay_alu instid0(VALU_DEP_1) | instskip(SKIP_4) | instid1(VALU_DEP_1)
	v_add_f64_e32 v[22:23], v[20:21], v[14:15]
	ds_load_2addr_stride64_b64 v[14:17], v1 offset0:8 offset1:9
	ds_load_2addr_stride64_b64 v[18:21], v1 offset0:10 offset1:11
	s_wait_dscnt 0x1
	v_add_f64_e32 v[14:15], v[14:15], v[22:23]
	v_add_f64_e32 v[14:15], v[16:17], v[14:15]
	s_wait_dscnt 0x0
	s_delay_alu instid0(VALU_DEP_1) | instskip(NEXT) | instid1(VALU_DEP_1)
	v_add_f64_e32 v[14:15], v[18:19], v[14:15]
	v_add_f64_e32 v[22:23], v[20:21], v[14:15]
	ds_load_2addr_stride64_b64 v[14:17], v1 offset0:12 offset1:13
	ds_load_2addr_stride64_b64 v[18:21], v1 offset0:14 offset1:15
	s_wait_dscnt 0x1
	v_add_f64_e32 v[14:15], v[14:15], v[22:23]
	s_delay_alu instid0(VALU_DEP_1) | instskip(SKIP_1) | instid1(VALU_DEP_1)
	v_add_f64_e32 v[14:15], v[16:17], v[14:15]
	s_wait_dscnt 0x0
	v_add_f64_e32 v[14:15], v[18:19], v[14:15]
	s_delay_alu instid0(VALU_DEP_1)
	v_add_f64_e32 v[14:15], v[20:21], v[14:15]
	ds_store_b64 v1, v[14:15]
	s_and_b32 exec_lo, exec_lo, s0
	s_cbranch_execz .LBB63_2
; %bb.13:                               ;   in Loop: Header=BB63_3 Depth=1
	s_mul_u64 s[22:23], s[10:11], s[16:17]
	s_delay_alu instid0(SALU_CYCLE_1)
	v_lshl_add_u64 v[16:17], s[22:23], 3, v[8:9]
	global_store_b64 v[16:17], v[14:15], off
	s_branch .LBB63_2
.LBB63_14:
	s_endpgm
	.section	.rodata,"a",@progbits
	.p2align	6, 0x0
	.amdhsa_kernel _ZL20rocblas_trmvn_kernelILi64ELi16ELb0ELb0EPKPKdPKPdS4_EviT3_lllT4_lllT5_li
		.amdhsa_group_segment_fixed_size 8192
		.amdhsa_private_segment_fixed_size 0
		.amdhsa_kernarg_size 352
		.amdhsa_user_sgpr_count 2
		.amdhsa_user_sgpr_dispatch_ptr 0
		.amdhsa_user_sgpr_queue_ptr 0
		.amdhsa_user_sgpr_kernarg_segment_ptr 1
		.amdhsa_user_sgpr_dispatch_id 0
		.amdhsa_user_sgpr_kernarg_preload_length 0
		.amdhsa_user_sgpr_kernarg_preload_offset 0
		.amdhsa_user_sgpr_private_segment_size 0
		.amdhsa_wavefront_size32 1
		.amdhsa_uses_dynamic_stack 0
		.amdhsa_enable_private_segment 0
		.amdhsa_system_sgpr_workgroup_id_x 1
		.amdhsa_system_sgpr_workgroup_id_y 0
		.amdhsa_system_sgpr_workgroup_id_z 1
		.amdhsa_system_sgpr_workgroup_info 0
		.amdhsa_system_vgpr_workitem_id 1
		.amdhsa_next_free_vgpr 26
		.amdhsa_next_free_sgpr 25
		.amdhsa_named_barrier_count 0
		.amdhsa_reserve_vcc 1
		.amdhsa_float_round_mode_32 0
		.amdhsa_float_round_mode_16_64 0
		.amdhsa_float_denorm_mode_32 3
		.amdhsa_float_denorm_mode_16_64 3
		.amdhsa_fp16_overflow 0
		.amdhsa_memory_ordered 1
		.amdhsa_forward_progress 1
		.amdhsa_inst_pref_size 8
		.amdhsa_round_robin_scheduling 0
		.amdhsa_exception_fp_ieee_invalid_op 0
		.amdhsa_exception_fp_denorm_src 0
		.amdhsa_exception_fp_ieee_div_zero 0
		.amdhsa_exception_fp_ieee_overflow 0
		.amdhsa_exception_fp_ieee_underflow 0
		.amdhsa_exception_fp_ieee_inexact 0
		.amdhsa_exception_int_div_zero 0
	.end_amdhsa_kernel
	.section	.text._ZL20rocblas_trmvn_kernelILi64ELi16ELb0ELb0EPKPKdPKPdS4_EviT3_lllT4_lllT5_li,"axG",@progbits,_ZL20rocblas_trmvn_kernelILi64ELi16ELb0ELb0EPKPKdPKPdS4_EviT3_lllT4_lllT5_li,comdat
.Lfunc_end63:
	.size	_ZL20rocblas_trmvn_kernelILi64ELi16ELb0ELb0EPKPKdPKPdS4_EviT3_lllT4_lllT5_li, .Lfunc_end63-_ZL20rocblas_trmvn_kernelILi64ELi16ELb0ELb0EPKPKdPKPdS4_EviT3_lllT4_lllT5_li
                                        ; -- End function
	.set _ZL20rocblas_trmvn_kernelILi64ELi16ELb0ELb0EPKPKdPKPdS4_EviT3_lllT4_lllT5_li.num_vgpr, 26
	.set _ZL20rocblas_trmvn_kernelILi64ELi16ELb0ELb0EPKPKdPKPdS4_EviT3_lllT4_lllT5_li.num_agpr, 0
	.set _ZL20rocblas_trmvn_kernelILi64ELi16ELb0ELb0EPKPKdPKPdS4_EviT3_lllT4_lllT5_li.numbered_sgpr, 25
	.set _ZL20rocblas_trmvn_kernelILi64ELi16ELb0ELb0EPKPKdPKPdS4_EviT3_lllT4_lllT5_li.num_named_barrier, 0
	.set _ZL20rocblas_trmvn_kernelILi64ELi16ELb0ELb0EPKPKdPKPdS4_EviT3_lllT4_lllT5_li.private_seg_size, 0
	.set _ZL20rocblas_trmvn_kernelILi64ELi16ELb0ELb0EPKPKdPKPdS4_EviT3_lllT4_lllT5_li.uses_vcc, 1
	.set _ZL20rocblas_trmvn_kernelILi64ELi16ELb0ELb0EPKPKdPKPdS4_EviT3_lllT4_lllT5_li.uses_flat_scratch, 0
	.set _ZL20rocblas_trmvn_kernelILi64ELi16ELb0ELb0EPKPKdPKPdS4_EviT3_lllT4_lllT5_li.has_dyn_sized_stack, 0
	.set _ZL20rocblas_trmvn_kernelILi64ELi16ELb0ELb0EPKPKdPKPdS4_EviT3_lllT4_lllT5_li.has_recursion, 0
	.set _ZL20rocblas_trmvn_kernelILi64ELi16ELb0ELb0EPKPKdPKPdS4_EviT3_lllT4_lllT5_li.has_indirect_call, 0
	.section	.AMDGPU.csdata,"",@progbits
; Kernel info:
; codeLenInByte = 936
; TotalNumSgprs: 27
; NumVgprs: 26
; ScratchSize: 0
; MemoryBound: 1
; FloatMode: 240
; IeeeMode: 1
; LDSByteSize: 8192 bytes/workgroup (compile time only)
; SGPRBlocks: 0
; VGPRBlocks: 1
; NumSGPRsForWavesPerEU: 27
; NumVGPRsForWavesPerEU: 26
; NamedBarCnt: 0
; Occupancy: 16
; WaveLimiterHint : 1
; COMPUTE_PGM_RSRC2:SCRATCH_EN: 0
; COMPUTE_PGM_RSRC2:USER_SGPR: 2
; COMPUTE_PGM_RSRC2:TRAP_HANDLER: 0
; COMPUTE_PGM_RSRC2:TGID_X_EN: 1
; COMPUTE_PGM_RSRC2:TGID_Y_EN: 0
; COMPUTE_PGM_RSRC2:TGID_Z_EN: 1
; COMPUTE_PGM_RSRC2:TIDIG_COMP_CNT: 1
	.section	.text._ZL20rocblas_trmvt_kernelILi512ELb0ELb0ELb0EPKPKdPKPdS4_EviT3_lllT4_lllT5_li,"axG",@progbits,_ZL20rocblas_trmvt_kernelILi512ELb0ELb0ELb0EPKPKdPKPdS4_EviT3_lllT4_lllT5_li,comdat
	.globl	_ZL20rocblas_trmvt_kernelILi512ELb0ELb0ELb0EPKPKdPKPdS4_EviT3_lllT4_lllT5_li ; -- Begin function _ZL20rocblas_trmvt_kernelILi512ELb0ELb0ELb0EPKPKdPKPdS4_EviT3_lllT4_lllT5_li
	.p2align	8
	.type	_ZL20rocblas_trmvt_kernelILi512ELb0ELb0ELb0EPKPKdPKPdS4_EviT3_lllT4_lllT5_li,@function
_ZL20rocblas_trmvt_kernelILi512ELb0ELb0ELb0EPKPKdPKPdS4_EviT3_lllT4_lllT5_li: ; @_ZL20rocblas_trmvt_kernelILi512ELb0ELb0ELb0EPKPKdPKPdS4_EviT3_lllT4_lllT5_li
; %bb.0:
	s_load_b32 s28, s[0:1], 0x58
	s_bfe_u32 s2, ttmp6, 0x40014
	s_lshr_b32 s4, ttmp7, 16
	s_add_co_i32 s2, s2, 1
	s_bfe_u32 s5, ttmp6, 0x40008
	s_mul_i32 s2, s4, s2
	s_getreg_b32 s3, hwreg(HW_REG_IB_STS2, 6, 4)
	s_add_co_i32 s5, s5, s2
	s_cmp_eq_u32 s3, 0
	s_mov_b32 s17, 0
	s_cselect_b32 s16, s4, s5
	s_wait_kmcnt 0x0
	s_cmp_ge_u32 s16, s28
	s_cbranch_scc1 .LBB64_21
; %bb.1:
	s_clause 0x5
	s_load_b64 s[24:25], s[0:1], 0x38
	s_load_b32 s29, s[0:1], 0x0
	s_load_b128 s[8:11], s[0:1], 0x8
	s_load_b64 s[20:21], s[0:1], 0x18
	s_load_b128 s[12:15], s[0:1], 0x28
	s_load_b128 s[4:7], s[0:1], 0x48
	v_dual_mov_b32 v3, 0 :: v_dual_bitop2_b32 v2, 31, v0 bitop3:0x40
	v_mbcnt_lo_u32_b32 v8, -1, 0
	s_bfe_u32 s2, ttmp6, 0x4000c
	s_delay_alu instid0(VALU_DEP_2)
	v_dual_lshrrev_b32 v9, 2, v0 :: v_dual_mov_b32 v1, v3
	s_add_co_i32 s2, s2, 1
	s_and_b32 s18, ttmp6, 15
	s_mul_i32 s19, ttmp9, s2
	v_cmp_gt_u32_e64 s2, 24, v8
	s_add_co_i32 s18, s18, s19
	s_cmp_eq_u32 s3, 0
	v_mov_b64_e32 v[4:5], 0
	s_cselect_b32 s18, ttmp9, s18
	s_wait_kmcnt 0x0
	v_mul_u64_e32 v[6:7], s[24:25], v[0:1]
	v_cndmask_b32_e64 v10, 0, 8, s2
	v_cmp_gt_u32_e64 s2, 28, v8
	v_cmp_gt_i32_e64 s3, s29, v0
	s_lshl_b64 s[14:15], s[14:15], 3
	s_ashr_i32 s19, s18, 31
	v_cmp_gt_u32_e64 s0, 32, v0
	v_cndmask_b32_e64 v11, 0, 4, s2
	v_cmp_gt_u32_e64 s2, 30, v8
	v_cmp_gt_u32_e64 s1, 16, v0
	v_lshl_or_b32 v14, v8, 2, 64
	v_and_b32_e32 v15, 0x78, v9
	v_add_lshl_u32 v16, v10, v8, 2
	v_cndmask_b32_e64 v12, 0, 2, s2
	v_cmp_ne_u32_e64 s2, 31, v8
	v_add_lshl_u32 v17, v11, v8, 2
	s_lshl_b64 s[22:23], s[18:19], 3
	s_mul_u64 s[26:27], s[24:25], s[18:19]
	v_add_lshl_u32 v18, v12, v8, 2
	v_add_co_ci_u32_e64 v13, null, 0, v8, s2
	v_lshlrev_b32_e32 v1, 3, v2
	v_cmp_eq_u32_e64 s2, 0, v2
	s_delay_alu instid0(VALU_DEP_3) | instskip(SKIP_3) | instid1(VALU_DEP_1)
	v_dual_cndmask_b32 v2, 0, v0, s3 :: v_dual_lshlrev_b32 v19, 2, v13
	s_mul_u64 s[20:21], s[20:21], s[18:19]
	s_add_nc_u64 s[22:23], s[4:5], s[22:23]
	s_lshl_b64 s[24:25], s[24:25], 12
	v_lshlrev_b32_e32 v2, 3, v2
	s_lshl_b64 s[10:11], s[10:11], 3
	s_lshl_b64 s[26:27], s[26:27], 3
	v_cmp_eq_u32_e32 vcc_lo, 0, v0
	v_lshl_add_u64 v[6:7], v[6:7], 3, s[14:15]
	s_branch .LBB64_3
.LBB64_2:                               ;   in Loop: Header=BB64_3 Depth=1
	s_wait_xcnt 0x0
	s_or_b32 exec_lo, exec_lo, s4
	s_add_co_i32 s16, s16, 0x10000
	s_delay_alu instid0(SALU_CYCLE_1)
	s_cmp_lt_u32 s16, s28
	s_cbranch_scc0 .LBB64_21
.LBB64_3:                               ; =>This Loop Header: Depth=1
                                        ;     Child Loop BB64_15 Depth 2
	v_mov_b32_e32 v10, s16
	s_wait_dscnt 0x0
	s_clause 0x1
	global_load_b64 v[8:9], v10, s[8:9] scale_offset
	global_load_b64 v[12:13], v10, s[12:13] scale_offset
	s_wait_loadcnt 0x1
	v_add_nc_u64_e32 v[8:9], s[10:11], v[8:9]
	s_wait_xcnt 0x0
	s_delay_alu instid0(VALU_DEP_1) | instskip(SKIP_1) | instid1(VALU_DEP_2)
	v_add_nc_u64_e32 v[10:11], v[8:9], v[2:3]
	v_mov_b64_e32 v[8:9], 0
	v_lshl_add_u64 v[10:11], s[20:21], 3, v[10:11]
	s_and_saveexec_b32 s4, vcc_lo
	s_cbranch_execnz .LBB64_12
; %bb.4:                                ;   in Loop: Header=BB64_3 Depth=1
	s_or_b32 exec_lo, exec_lo, s4
	s_and_saveexec_b32 s5, s3
	s_cbranch_execnz .LBB64_13
.LBB64_5:                               ;   in Loop: Header=BB64_3 Depth=1
	s_or_b32 exec_lo, exec_lo, s5
	s_and_saveexec_b32 s4, s0
.LBB64_6:                               ;   in Loop: Header=BB64_3 Depth=1
	ds_store_b64 v1, v[4:5]
.LBB64_7:                               ;   in Loop: Header=BB64_3 Depth=1
	s_or_b32 exec_lo, exec_lo, s4
	ds_bpermute_b32 v10, v14, v8
	ds_bpermute_b32 v11, v14, v9
	s_wait_loadcnt_dscnt 0x0
	s_barrier_signal -1
	s_barrier_wait -1
	v_add_f64_e32 v[8:9], v[8:9], v[10:11]
	ds_bpermute_b32 v10, v16, v8
	ds_bpermute_b32 v11, v16, v9
	s_wait_dscnt 0x0
	v_add_f64_e32 v[8:9], v[8:9], v[10:11]
	ds_bpermute_b32 v10, v17, v8
	ds_bpermute_b32 v11, v17, v9
	s_wait_dscnt 0x0
	;; [unrolled: 4-line block ×3, first 2 shown]
	v_add_f64_e32 v[8:9], v[8:9], v[10:11]
	ds_bpermute_b32 v10, v19, v8
	ds_bpermute_b32 v11, v19, v9
	s_and_saveexec_b32 s4, s2
	s_cbranch_execz .LBB64_9
; %bb.8:                                ;   in Loop: Header=BB64_3 Depth=1
	s_wait_dscnt 0x0
	v_add_f64_e32 v[8:9], v[8:9], v[10:11]
	ds_store_b64 v15, v[8:9]
.LBB64_9:                               ;   in Loop: Header=BB64_3 Depth=1
	s_or_b32 exec_lo, exec_lo, s4
	v_mov_b64_e32 v[8:9], 0
	s_wait_dscnt 0x0
	s_barrier_signal -1
	s_barrier_wait -1
	s_and_saveexec_b32 s4, s1
	s_cbranch_execnz .LBB64_17
; %bb.10:                               ;   in Loop: Header=BB64_3 Depth=1
	s_or_b32 exec_lo, exec_lo, s4
	s_and_saveexec_b32 s4, s0
	s_cbranch_execnz .LBB64_18
.LBB64_11:                              ;   in Loop: Header=BB64_3 Depth=1
	s_or_b32 exec_lo, exec_lo, s4
	s_and_saveexec_b32 s4, vcc_lo
	s_cbranch_execz .LBB64_2
	s_branch .LBB64_19
.LBB64_12:                              ;   in Loop: Header=BB64_3 Depth=1
	s_wait_loadcnt 0x0
	v_add_nc_u64_e32 v[8:9], s[14:15], v[12:13]
	v_lshl_add_u64 v[20:21], s[18:19], 3, v[10:11]
	s_delay_alu instid0(VALU_DEP_2)
	v_add_nc_u64_e32 v[8:9], s[26:27], v[8:9]
	flat_load_b64 v[22:23], v[20:21]
	flat_load_b64 v[24:25], v[8:9]
	s_wait_loadcnt_dscnt 0x0
	s_wait_xcnt 0x0
	v_fma_f64 v[8:9], v[22:23], v[24:25], 0
	s_or_b32 exec_lo, exec_lo, s4
	s_and_saveexec_b32 s5, s3
	s_cbranch_execz .LBB64_5
.LBB64_13:                              ;   in Loop: Header=BB64_3 Depth=1
	s_wait_loadcnt 0x0
	v_add_nc_u64_e32 v[12:13], v[12:13], v[6:7]
	v_mov_b32_e32 v20, v0
	s_mov_b32 s30, 0
	s_branch .LBB64_15
.LBB64_14:                              ;   in Loop: Header=BB64_15 Depth=2
	s_wait_xcnt 0x0
	s_or_b32 exec_lo, exec_lo, s31
	v_add_nc_u32_e32 v20, 0x200, v20
	v_add_nc_u64_e32 v[10:11], 0x1000, v[10:11]
	v_add_nc_u64_e32 v[12:13], s[24:25], v[12:13]
	s_delay_alu instid0(VALU_DEP_3) | instskip(SKIP_1) | instid1(SALU_CYCLE_1)
	v_cmp_le_i32_e64 s4, s29, v20
	s_or_b32 s30, s4, s30
	s_and_not1_b32 exec_lo, exec_lo, s30
	s_cbranch_execz .LBB64_20
.LBB64_15:                              ;   Parent Loop BB64_3 Depth=1
                                        ; =>  This Inner Loop Header: Depth=2
	s_mov_b32 s31, exec_lo
	s_delay_alu instid0(VALU_DEP_1)
	v_cmpx_gt_i32_e64 s18, v20
	s_cbranch_execz .LBB64_14
; %bb.16:                               ;   in Loop: Header=BB64_15 Depth=2
	flat_load_b64 v[22:23], v[10:11]
	flat_load_b64 v[24:25], v[12:13]
	s_wait_loadcnt_dscnt 0x0
	v_fmac_f64_e32 v[8:9], v[22:23], v[24:25]
	s_branch .LBB64_14
.LBB64_17:                              ;   in Loop: Header=BB64_3 Depth=1
	ds_load_b64 v[8:9], v1
	s_or_b32 exec_lo, exec_lo, s4
	s_and_saveexec_b32 s4, s0
	s_cbranch_execz .LBB64_11
.LBB64_18:                              ;   in Loop: Header=BB64_3 Depth=1
	s_wait_dscnt 0x0
	ds_bpermute_b32 v10, v16, v8
	ds_bpermute_b32 v11, v16, v9
	s_wait_dscnt 0x0
	v_add_f64_e32 v[8:9], v[8:9], v[10:11]
	ds_bpermute_b32 v10, v17, v8
	ds_bpermute_b32 v11, v17, v9
	s_wait_dscnt 0x0
	v_add_f64_e32 v[8:9], v[8:9], v[10:11]
	;; [unrolled: 4-line block ×4, first 2 shown]
	s_or_b32 exec_lo, exec_lo, s4
	s_and_saveexec_b32 s4, vcc_lo
	s_cbranch_execz .LBB64_2
.LBB64_19:                              ;   in Loop: Header=BB64_3 Depth=1
	s_mul_u64 s[30:31], s[6:7], s[16:17]
	s_delay_alu instid0(SALU_CYCLE_1) | instskip(NEXT) | instid1(SALU_CYCLE_1)
	s_lshl_b64 s[30:31], s[30:31], 3
	s_add_nc_u64 s[30:31], s[22:23], s[30:31]
	s_wait_dscnt 0x0
	global_store_b64 v3, v[8:9], s[30:31]
	s_branch .LBB64_2
.LBB64_20:                              ;   in Loop: Header=BB64_3 Depth=1
	s_or_b32 exec_lo, exec_lo, s30
	s_delay_alu instid0(SALU_CYCLE_1)
	s_or_b32 exec_lo, exec_lo, s5
	s_and_saveexec_b32 s4, s0
	s_cbranch_execnz .LBB64_6
	s_branch .LBB64_7
.LBB64_21:
	s_endpgm
	.section	.rodata,"a",@progbits
	.p2align	6, 0x0
	.amdhsa_kernel _ZL20rocblas_trmvt_kernelILi512ELb0ELb0ELb0EPKPKdPKPdS4_EviT3_lllT4_lllT5_li
		.amdhsa_group_segment_fixed_size 256
		.amdhsa_private_segment_fixed_size 0
		.amdhsa_kernarg_size 92
		.amdhsa_user_sgpr_count 2
		.amdhsa_user_sgpr_dispatch_ptr 0
		.amdhsa_user_sgpr_queue_ptr 0
		.amdhsa_user_sgpr_kernarg_segment_ptr 1
		.amdhsa_user_sgpr_dispatch_id 0
		.amdhsa_user_sgpr_kernarg_preload_length 0
		.amdhsa_user_sgpr_kernarg_preload_offset 0
		.amdhsa_user_sgpr_private_segment_size 0
		.amdhsa_wavefront_size32 1
		.amdhsa_uses_dynamic_stack 0
		.amdhsa_enable_private_segment 0
		.amdhsa_system_sgpr_workgroup_id_x 1
		.amdhsa_system_sgpr_workgroup_id_y 0
		.amdhsa_system_sgpr_workgroup_id_z 1
		.amdhsa_system_sgpr_workgroup_info 0
		.amdhsa_system_vgpr_workitem_id 0
		.amdhsa_next_free_vgpr 26
		.amdhsa_next_free_sgpr 32
		.amdhsa_named_barrier_count 0
		.amdhsa_reserve_vcc 1
		.amdhsa_float_round_mode_32 0
		.amdhsa_float_round_mode_16_64 0
		.amdhsa_float_denorm_mode_32 3
		.amdhsa_float_denorm_mode_16_64 3
		.amdhsa_fp16_overflow 0
		.amdhsa_memory_ordered 1
		.amdhsa_forward_progress 1
		.amdhsa_inst_pref_size 9
		.amdhsa_round_robin_scheduling 0
		.amdhsa_exception_fp_ieee_invalid_op 0
		.amdhsa_exception_fp_denorm_src 0
		.amdhsa_exception_fp_ieee_div_zero 0
		.amdhsa_exception_fp_ieee_overflow 0
		.amdhsa_exception_fp_ieee_underflow 0
		.amdhsa_exception_fp_ieee_inexact 0
		.amdhsa_exception_int_div_zero 0
	.end_amdhsa_kernel
	.section	.text._ZL20rocblas_trmvt_kernelILi512ELb0ELb0ELb0EPKPKdPKPdS4_EviT3_lllT4_lllT5_li,"axG",@progbits,_ZL20rocblas_trmvt_kernelILi512ELb0ELb0ELb0EPKPKdPKPdS4_EviT3_lllT4_lllT5_li,comdat
.Lfunc_end64:
	.size	_ZL20rocblas_trmvt_kernelILi512ELb0ELb0ELb0EPKPKdPKPdS4_EviT3_lllT4_lllT5_li, .Lfunc_end64-_ZL20rocblas_trmvt_kernelILi512ELb0ELb0ELb0EPKPKdPKPdS4_EviT3_lllT4_lllT5_li
                                        ; -- End function
	.set _ZL20rocblas_trmvt_kernelILi512ELb0ELb0ELb0EPKPKdPKPdS4_EviT3_lllT4_lllT5_li.num_vgpr, 26
	.set _ZL20rocblas_trmvt_kernelILi512ELb0ELb0ELb0EPKPKdPKPdS4_EviT3_lllT4_lllT5_li.num_agpr, 0
	.set _ZL20rocblas_trmvt_kernelILi512ELb0ELb0ELb0EPKPKdPKPdS4_EviT3_lllT4_lllT5_li.numbered_sgpr, 32
	.set _ZL20rocblas_trmvt_kernelILi512ELb0ELb0ELb0EPKPKdPKPdS4_EviT3_lllT4_lllT5_li.num_named_barrier, 0
	.set _ZL20rocblas_trmvt_kernelILi512ELb0ELb0ELb0EPKPKdPKPdS4_EviT3_lllT4_lllT5_li.private_seg_size, 0
	.set _ZL20rocblas_trmvt_kernelILi512ELb0ELb0ELb0EPKPKdPKPdS4_EviT3_lllT4_lllT5_li.uses_vcc, 1
	.set _ZL20rocblas_trmvt_kernelILi512ELb0ELb0ELb0EPKPKdPKPdS4_EviT3_lllT4_lllT5_li.uses_flat_scratch, 0
	.set _ZL20rocblas_trmvt_kernelILi512ELb0ELb0ELb0EPKPKdPKPdS4_EviT3_lllT4_lllT5_li.has_dyn_sized_stack, 0
	.set _ZL20rocblas_trmvt_kernelILi512ELb0ELb0ELb0EPKPKdPKPdS4_EviT3_lllT4_lllT5_li.has_recursion, 0
	.set _ZL20rocblas_trmvt_kernelILi512ELb0ELb0ELb0EPKPKdPKPdS4_EviT3_lllT4_lllT5_li.has_indirect_call, 0
	.section	.AMDGPU.csdata,"",@progbits
; Kernel info:
; codeLenInByte = 1148
; TotalNumSgprs: 34
; NumVgprs: 26
; ScratchSize: 0
; MemoryBound: 1
; FloatMode: 240
; IeeeMode: 1
; LDSByteSize: 256 bytes/workgroup (compile time only)
; SGPRBlocks: 0
; VGPRBlocks: 1
; NumSGPRsForWavesPerEU: 34
; NumVGPRsForWavesPerEU: 26
; NamedBarCnt: 0
; Occupancy: 16
; WaveLimiterHint : 1
; COMPUTE_PGM_RSRC2:SCRATCH_EN: 0
; COMPUTE_PGM_RSRC2:USER_SGPR: 2
; COMPUTE_PGM_RSRC2:TRAP_HANDLER: 0
; COMPUTE_PGM_RSRC2:TGID_X_EN: 1
; COMPUTE_PGM_RSRC2:TGID_Y_EN: 0
; COMPUTE_PGM_RSRC2:TGID_Z_EN: 1
; COMPUTE_PGM_RSRC2:TIDIG_COMP_CNT: 0
	.section	.text._ZL20rocblas_trmvt_kernelILi512ELb0ELb1ELb0EPKPKdPKPdS4_EviT3_lllT4_lllT5_li,"axG",@progbits,_ZL20rocblas_trmvt_kernelILi512ELb0ELb1ELb0EPKPKdPKPdS4_EviT3_lllT4_lllT5_li,comdat
	.globl	_ZL20rocblas_trmvt_kernelILi512ELb0ELb1ELb0EPKPKdPKPdS4_EviT3_lllT4_lllT5_li ; -- Begin function _ZL20rocblas_trmvt_kernelILi512ELb0ELb1ELb0EPKPKdPKPdS4_EviT3_lllT4_lllT5_li
	.p2align	8
	.type	_ZL20rocblas_trmvt_kernelILi512ELb0ELb1ELb0EPKPKdPKPdS4_EviT3_lllT4_lllT5_li,@function
_ZL20rocblas_trmvt_kernelILi512ELb0ELb1ELb0EPKPKdPKPdS4_EviT3_lllT4_lllT5_li: ; @_ZL20rocblas_trmvt_kernelILi512ELb0ELb1ELb0EPKPKdPKPdS4_EviT3_lllT4_lllT5_li
; %bb.0:
	s_load_b32 s28, s[0:1], 0x58
	s_bfe_u32 s2, ttmp6, 0x40014
	s_lshr_b32 s4, ttmp7, 16
	s_add_co_i32 s2, s2, 1
	s_bfe_u32 s5, ttmp6, 0x40008
	s_mul_i32 s2, s4, s2
	s_getreg_b32 s3, hwreg(HW_REG_IB_STS2, 6, 4)
	s_add_co_i32 s5, s5, s2
	s_cmp_eq_u32 s3, 0
	s_mov_b32 s17, 0
	s_cselect_b32 s16, s4, s5
	s_wait_kmcnt 0x0
	s_cmp_ge_u32 s16, s28
	s_cbranch_scc1 .LBB65_21
; %bb.1:
	s_clause 0x5
	s_load_b64 s[24:25], s[0:1], 0x38
	s_load_b32 s29, s[0:1], 0x0
	s_load_b128 s[8:11], s[0:1], 0x8
	s_load_b64 s[20:21], s[0:1], 0x18
	s_load_b128 s[12:15], s[0:1], 0x28
	s_load_b128 s[4:7], s[0:1], 0x48
	v_dual_mov_b32 v3, 0 :: v_dual_bitop2_b32 v2, 31, v0 bitop3:0x40
	v_mbcnt_lo_u32_b32 v8, -1, 0
	s_bfe_u32 s2, ttmp6, 0x4000c
	s_delay_alu instid0(VALU_DEP_2)
	v_dual_lshrrev_b32 v9, 2, v0 :: v_dual_mov_b32 v1, v3
	s_add_co_i32 s2, s2, 1
	s_and_b32 s18, ttmp6, 15
	s_mul_i32 s19, ttmp9, s2
	v_cmp_gt_u32_e64 s2, 24, v8
	s_add_co_i32 s18, s18, s19
	s_cmp_eq_u32 s3, 0
	v_mov_b64_e32 v[4:5], 0
	s_cselect_b32 s18, ttmp9, s18
	s_wait_kmcnt 0x0
	v_mul_u64_e32 v[6:7], s[24:25], v[0:1]
	v_cndmask_b32_e64 v10, 0, 8, s2
	v_cmp_gt_u32_e64 s2, 28, v8
	v_cmp_gt_i32_e64 s3, s29, v0
	s_lshl_b64 s[14:15], s[14:15], 3
	s_ashr_i32 s19, s18, 31
	v_cmp_gt_u32_e64 s0, 32, v0
	v_cndmask_b32_e64 v11, 0, 4, s2
	v_cmp_gt_u32_e64 s2, 30, v8
	v_cmp_gt_u32_e64 s1, 16, v0
	v_lshl_or_b32 v14, v8, 2, 64
	v_and_b32_e32 v15, 0x78, v9
	v_add_lshl_u32 v16, v10, v8, 2
	v_cndmask_b32_e64 v12, 0, 2, s2
	v_cmp_ne_u32_e64 s2, 31, v8
	v_add_lshl_u32 v17, v11, v8, 2
	s_lshl_b64 s[22:23], s[18:19], 3
	s_mul_u64 s[26:27], s[24:25], s[18:19]
	v_add_lshl_u32 v18, v12, v8, 2
	v_add_co_ci_u32_e64 v13, null, 0, v8, s2
	v_lshlrev_b32_e32 v1, 3, v2
	v_cmp_eq_u32_e64 s2, 0, v2
	s_delay_alu instid0(VALU_DEP_3) | instskip(SKIP_3) | instid1(VALU_DEP_1)
	v_dual_cndmask_b32 v2, 0, v0, s3 :: v_dual_lshlrev_b32 v19, 2, v13
	s_mul_u64 s[20:21], s[20:21], s[18:19]
	s_add_nc_u64 s[22:23], s[4:5], s[22:23]
	s_lshl_b64 s[24:25], s[24:25], 12
	v_lshlrev_b32_e32 v2, 3, v2
	s_lshl_b64 s[10:11], s[10:11], 3
	s_lshl_b64 s[26:27], s[26:27], 3
	v_cmp_eq_u32_e32 vcc_lo, 0, v0
	v_lshl_add_u64 v[6:7], v[6:7], 3, s[14:15]
	s_branch .LBB65_3
.LBB65_2:                               ;   in Loop: Header=BB65_3 Depth=1
	s_wait_xcnt 0x0
	s_or_b32 exec_lo, exec_lo, s4
	s_add_co_i32 s16, s16, 0x10000
	s_delay_alu instid0(SALU_CYCLE_1)
	s_cmp_lt_u32 s16, s28
	s_cbranch_scc0 .LBB65_21
.LBB65_3:                               ; =>This Loop Header: Depth=1
                                        ;     Child Loop BB65_15 Depth 2
	v_mov_b32_e32 v10, s16
	s_wait_dscnt 0x0
	s_clause 0x1
	global_load_b64 v[8:9], v10, s[8:9] scale_offset
	global_load_b64 v[12:13], v10, s[12:13] scale_offset
	s_wait_loadcnt 0x1
	v_add_nc_u64_e32 v[8:9], s[10:11], v[8:9]
	s_wait_xcnt 0x0
	s_delay_alu instid0(VALU_DEP_1) | instskip(SKIP_1) | instid1(VALU_DEP_2)
	v_add_nc_u64_e32 v[10:11], v[8:9], v[2:3]
	v_mov_b64_e32 v[8:9], 0
	v_lshl_add_u64 v[10:11], s[20:21], 3, v[10:11]
	s_and_saveexec_b32 s4, vcc_lo
	s_cbranch_execnz .LBB65_12
; %bb.4:                                ;   in Loop: Header=BB65_3 Depth=1
	s_or_b32 exec_lo, exec_lo, s4
	s_and_saveexec_b32 s5, s3
	s_cbranch_execnz .LBB65_13
.LBB65_5:                               ;   in Loop: Header=BB65_3 Depth=1
	s_or_b32 exec_lo, exec_lo, s5
	s_and_saveexec_b32 s4, s0
.LBB65_6:                               ;   in Loop: Header=BB65_3 Depth=1
	ds_store_b64 v1, v[4:5]
.LBB65_7:                               ;   in Loop: Header=BB65_3 Depth=1
	s_or_b32 exec_lo, exec_lo, s4
	ds_bpermute_b32 v10, v14, v8
	ds_bpermute_b32 v11, v14, v9
	s_wait_loadcnt_dscnt 0x0
	s_barrier_signal -1
	s_barrier_wait -1
	v_add_f64_e32 v[8:9], v[8:9], v[10:11]
	ds_bpermute_b32 v10, v16, v8
	ds_bpermute_b32 v11, v16, v9
	s_wait_dscnt 0x0
	v_add_f64_e32 v[8:9], v[8:9], v[10:11]
	ds_bpermute_b32 v10, v17, v8
	ds_bpermute_b32 v11, v17, v9
	s_wait_dscnt 0x0
	;; [unrolled: 4-line block ×3, first 2 shown]
	v_add_f64_e32 v[8:9], v[8:9], v[10:11]
	ds_bpermute_b32 v10, v19, v8
	ds_bpermute_b32 v11, v19, v9
	s_and_saveexec_b32 s4, s2
	s_cbranch_execz .LBB65_9
; %bb.8:                                ;   in Loop: Header=BB65_3 Depth=1
	s_wait_dscnt 0x0
	v_add_f64_e32 v[8:9], v[8:9], v[10:11]
	ds_store_b64 v15, v[8:9]
.LBB65_9:                               ;   in Loop: Header=BB65_3 Depth=1
	s_or_b32 exec_lo, exec_lo, s4
	v_mov_b64_e32 v[8:9], 0
	s_wait_dscnt 0x0
	s_barrier_signal -1
	s_barrier_wait -1
	s_and_saveexec_b32 s4, s1
	s_cbranch_execnz .LBB65_17
; %bb.10:                               ;   in Loop: Header=BB65_3 Depth=1
	s_or_b32 exec_lo, exec_lo, s4
	s_and_saveexec_b32 s4, s0
	s_cbranch_execnz .LBB65_18
.LBB65_11:                              ;   in Loop: Header=BB65_3 Depth=1
	s_or_b32 exec_lo, exec_lo, s4
	s_and_saveexec_b32 s4, vcc_lo
	s_cbranch_execz .LBB65_2
	s_branch .LBB65_19
.LBB65_12:                              ;   in Loop: Header=BB65_3 Depth=1
	s_wait_loadcnt 0x0
	v_add_nc_u64_e32 v[8:9], s[14:15], v[12:13]
	v_lshl_add_u64 v[20:21], s[18:19], 3, v[10:11]
	s_delay_alu instid0(VALU_DEP_2)
	v_add_nc_u64_e32 v[8:9], s[26:27], v[8:9]
	flat_load_b64 v[22:23], v[20:21]
	flat_load_b64 v[24:25], v[8:9]
	s_wait_loadcnt_dscnt 0x0
	s_wait_xcnt 0x0
	v_fma_f64 v[8:9], v[22:23], v[24:25], 0
	s_or_b32 exec_lo, exec_lo, s4
	s_and_saveexec_b32 s5, s3
	s_cbranch_execz .LBB65_5
.LBB65_13:                              ;   in Loop: Header=BB65_3 Depth=1
	s_wait_loadcnt 0x0
	v_add_nc_u64_e32 v[12:13], v[12:13], v[6:7]
	v_mov_b32_e32 v20, v0
	s_mov_b32 s30, 0
	s_branch .LBB65_15
.LBB65_14:                              ;   in Loop: Header=BB65_15 Depth=2
	s_wait_xcnt 0x0
	s_or_b32 exec_lo, exec_lo, s31
	v_add_nc_u32_e32 v20, 0x200, v20
	v_add_nc_u64_e32 v[10:11], 0x1000, v[10:11]
	v_add_nc_u64_e32 v[12:13], s[24:25], v[12:13]
	s_delay_alu instid0(VALU_DEP_3) | instskip(SKIP_1) | instid1(SALU_CYCLE_1)
	v_cmp_le_i32_e64 s4, s29, v20
	s_or_b32 s30, s4, s30
	s_and_not1_b32 exec_lo, exec_lo, s30
	s_cbranch_execz .LBB65_20
.LBB65_15:                              ;   Parent Loop BB65_3 Depth=1
                                        ; =>  This Inner Loop Header: Depth=2
	s_mov_b32 s31, exec_lo
	s_delay_alu instid0(VALU_DEP_1)
	v_cmpx_gt_i32_e64 s18, v20
	s_cbranch_execz .LBB65_14
; %bb.16:                               ;   in Loop: Header=BB65_15 Depth=2
	flat_load_b64 v[22:23], v[10:11]
	flat_load_b64 v[24:25], v[12:13]
	s_wait_loadcnt_dscnt 0x0
	v_fmac_f64_e32 v[8:9], v[22:23], v[24:25]
	s_branch .LBB65_14
.LBB65_17:                              ;   in Loop: Header=BB65_3 Depth=1
	ds_load_b64 v[8:9], v1
	s_or_b32 exec_lo, exec_lo, s4
	s_and_saveexec_b32 s4, s0
	s_cbranch_execz .LBB65_11
.LBB65_18:                              ;   in Loop: Header=BB65_3 Depth=1
	s_wait_dscnt 0x0
	ds_bpermute_b32 v10, v16, v8
	ds_bpermute_b32 v11, v16, v9
	s_wait_dscnt 0x0
	v_add_f64_e32 v[8:9], v[8:9], v[10:11]
	ds_bpermute_b32 v10, v17, v8
	ds_bpermute_b32 v11, v17, v9
	s_wait_dscnt 0x0
	v_add_f64_e32 v[8:9], v[8:9], v[10:11]
	;; [unrolled: 4-line block ×4, first 2 shown]
	s_or_b32 exec_lo, exec_lo, s4
	s_and_saveexec_b32 s4, vcc_lo
	s_cbranch_execz .LBB65_2
.LBB65_19:                              ;   in Loop: Header=BB65_3 Depth=1
	s_mul_u64 s[30:31], s[6:7], s[16:17]
	s_delay_alu instid0(SALU_CYCLE_1) | instskip(NEXT) | instid1(SALU_CYCLE_1)
	s_lshl_b64 s[30:31], s[30:31], 3
	s_add_nc_u64 s[30:31], s[22:23], s[30:31]
	s_wait_dscnt 0x0
	global_store_b64 v3, v[8:9], s[30:31]
	s_branch .LBB65_2
.LBB65_20:                              ;   in Loop: Header=BB65_3 Depth=1
	s_or_b32 exec_lo, exec_lo, s30
	s_delay_alu instid0(SALU_CYCLE_1)
	s_or_b32 exec_lo, exec_lo, s5
	s_and_saveexec_b32 s4, s0
	s_cbranch_execnz .LBB65_6
	s_branch .LBB65_7
.LBB65_21:
	s_endpgm
	.section	.rodata,"a",@progbits
	.p2align	6, 0x0
	.amdhsa_kernel _ZL20rocblas_trmvt_kernelILi512ELb0ELb1ELb0EPKPKdPKPdS4_EviT3_lllT4_lllT5_li
		.amdhsa_group_segment_fixed_size 256
		.amdhsa_private_segment_fixed_size 0
		.amdhsa_kernarg_size 92
		.amdhsa_user_sgpr_count 2
		.amdhsa_user_sgpr_dispatch_ptr 0
		.amdhsa_user_sgpr_queue_ptr 0
		.amdhsa_user_sgpr_kernarg_segment_ptr 1
		.amdhsa_user_sgpr_dispatch_id 0
		.amdhsa_user_sgpr_kernarg_preload_length 0
		.amdhsa_user_sgpr_kernarg_preload_offset 0
		.amdhsa_user_sgpr_private_segment_size 0
		.amdhsa_wavefront_size32 1
		.amdhsa_uses_dynamic_stack 0
		.amdhsa_enable_private_segment 0
		.amdhsa_system_sgpr_workgroup_id_x 1
		.amdhsa_system_sgpr_workgroup_id_y 0
		.amdhsa_system_sgpr_workgroup_id_z 1
		.amdhsa_system_sgpr_workgroup_info 0
		.amdhsa_system_vgpr_workitem_id 0
		.amdhsa_next_free_vgpr 26
		.amdhsa_next_free_sgpr 32
		.amdhsa_named_barrier_count 0
		.amdhsa_reserve_vcc 1
		.amdhsa_float_round_mode_32 0
		.amdhsa_float_round_mode_16_64 0
		.amdhsa_float_denorm_mode_32 3
		.amdhsa_float_denorm_mode_16_64 3
		.amdhsa_fp16_overflow 0
		.amdhsa_memory_ordered 1
		.amdhsa_forward_progress 1
		.amdhsa_inst_pref_size 9
		.amdhsa_round_robin_scheduling 0
		.amdhsa_exception_fp_ieee_invalid_op 0
		.amdhsa_exception_fp_denorm_src 0
		.amdhsa_exception_fp_ieee_div_zero 0
		.amdhsa_exception_fp_ieee_overflow 0
		.amdhsa_exception_fp_ieee_underflow 0
		.amdhsa_exception_fp_ieee_inexact 0
		.amdhsa_exception_int_div_zero 0
	.end_amdhsa_kernel
	.section	.text._ZL20rocblas_trmvt_kernelILi512ELb0ELb1ELb0EPKPKdPKPdS4_EviT3_lllT4_lllT5_li,"axG",@progbits,_ZL20rocblas_trmvt_kernelILi512ELb0ELb1ELb0EPKPKdPKPdS4_EviT3_lllT4_lllT5_li,comdat
.Lfunc_end65:
	.size	_ZL20rocblas_trmvt_kernelILi512ELb0ELb1ELb0EPKPKdPKPdS4_EviT3_lllT4_lllT5_li, .Lfunc_end65-_ZL20rocblas_trmvt_kernelILi512ELb0ELb1ELb0EPKPKdPKPdS4_EviT3_lllT4_lllT5_li
                                        ; -- End function
	.set _ZL20rocblas_trmvt_kernelILi512ELb0ELb1ELb0EPKPKdPKPdS4_EviT3_lllT4_lllT5_li.num_vgpr, 26
	.set _ZL20rocblas_trmvt_kernelILi512ELb0ELb1ELb0EPKPKdPKPdS4_EviT3_lllT4_lllT5_li.num_agpr, 0
	.set _ZL20rocblas_trmvt_kernelILi512ELb0ELb1ELb0EPKPKdPKPdS4_EviT3_lllT4_lllT5_li.numbered_sgpr, 32
	.set _ZL20rocblas_trmvt_kernelILi512ELb0ELb1ELb0EPKPKdPKPdS4_EviT3_lllT4_lllT5_li.num_named_barrier, 0
	.set _ZL20rocblas_trmvt_kernelILi512ELb0ELb1ELb0EPKPKdPKPdS4_EviT3_lllT4_lllT5_li.private_seg_size, 0
	.set _ZL20rocblas_trmvt_kernelILi512ELb0ELb1ELb0EPKPKdPKPdS4_EviT3_lllT4_lllT5_li.uses_vcc, 1
	.set _ZL20rocblas_trmvt_kernelILi512ELb0ELb1ELb0EPKPKdPKPdS4_EviT3_lllT4_lllT5_li.uses_flat_scratch, 0
	.set _ZL20rocblas_trmvt_kernelILi512ELb0ELb1ELb0EPKPKdPKPdS4_EviT3_lllT4_lllT5_li.has_dyn_sized_stack, 0
	.set _ZL20rocblas_trmvt_kernelILi512ELb0ELb1ELb0EPKPKdPKPdS4_EviT3_lllT4_lllT5_li.has_recursion, 0
	.set _ZL20rocblas_trmvt_kernelILi512ELb0ELb1ELb0EPKPKdPKPdS4_EviT3_lllT4_lllT5_li.has_indirect_call, 0
	.section	.AMDGPU.csdata,"",@progbits
; Kernel info:
; codeLenInByte = 1148
; TotalNumSgprs: 34
; NumVgprs: 26
; ScratchSize: 0
; MemoryBound: 1
; FloatMode: 240
; IeeeMode: 1
; LDSByteSize: 256 bytes/workgroup (compile time only)
; SGPRBlocks: 0
; VGPRBlocks: 1
; NumSGPRsForWavesPerEU: 34
; NumVGPRsForWavesPerEU: 26
; NamedBarCnt: 0
; Occupancy: 16
; WaveLimiterHint : 1
; COMPUTE_PGM_RSRC2:SCRATCH_EN: 0
; COMPUTE_PGM_RSRC2:USER_SGPR: 2
; COMPUTE_PGM_RSRC2:TRAP_HANDLER: 0
; COMPUTE_PGM_RSRC2:TGID_X_EN: 1
; COMPUTE_PGM_RSRC2:TGID_Y_EN: 0
; COMPUTE_PGM_RSRC2:TGID_Z_EN: 1
; COMPUTE_PGM_RSRC2:TIDIG_COMP_CNT: 0
	.section	.text._ZL20rocblas_trmvn_kernelILi64ELi16ELb1ELb1EPKPKdPKPdS4_EviT3_lllT4_lllT5_li,"axG",@progbits,_ZL20rocblas_trmvn_kernelILi64ELi16ELb1ELb1EPKPKdPKPdS4_EviT3_lllT4_lllT5_li,comdat
	.globl	_ZL20rocblas_trmvn_kernelILi64ELi16ELb1ELb1EPKPKdPKPdS4_EviT3_lllT4_lllT5_li ; -- Begin function _ZL20rocblas_trmvn_kernelILi64ELi16ELb1ELb1EPKPKdPKPdS4_EviT3_lllT4_lllT5_li
	.p2align	8
	.type	_ZL20rocblas_trmvn_kernelILi64ELi16ELb1ELb1EPKPKdPKPdS4_EviT3_lllT4_lllT5_li,@function
_ZL20rocblas_trmvn_kernelILi64ELi16ELb1ELb1EPKPKdPKPdS4_EviT3_lllT4_lllT5_li: ; @_ZL20rocblas_trmvn_kernelILi64ELi16ELb1ELb1EPKPKdPKPdS4_EviT3_lllT4_lllT5_li
; %bb.0:
	s_load_b32 s3, s[0:1], 0x58
	s_bfe_u32 s2, ttmp6, 0x40014
	s_lshr_b32 s4, ttmp7, 16
	s_add_co_i32 s2, s2, 1
	s_bfe_u32 s6, ttmp6, 0x40008
	s_mul_i32 s5, s4, s2
	s_getreg_b32 s2, hwreg(HW_REG_IB_STS2, 6, 4)
	s_add_co_i32 s6, s6, s5
	s_cmp_eq_u32 s2, 0
	s_mov_b32 s17, 0
	s_cselect_b32 s16, s4, s6
	s_wait_kmcnt 0x0
	s_cmp_ge_u32 s16, s3
	s_cbranch_scc1 .LBB66_14
; %bb.1:
	s_clause 0x2
	s_load_b32 s4, s[0:1], 0x6c
	s_load_b64 s[20:21], s[0:1], 0x18
	s_load_b64 s[22:23], s[0:1], 0x38
	s_bfe_u32 s5, ttmp6, 0x4000c
	s_and_b32 s6, ttmp6, 15
	s_add_co_i32 s5, s5, 1
	v_and_b32_e32 v12, 0x3ff, v0
	s_mul_i32 s5, ttmp9, s5
	v_bfe_u32 v2, v0, 10, 10
	s_add_co_i32 s8, s6, s5
	s_load_b128 s[12:15], s[0:1], 0x8
	s_delay_alu instid0(VALU_DEP_1)
	v_dual_lshlrev_b32 v15, 3, v12 :: v_dual_lshlrev_b32 v16, 9, v2
	s_wait_kmcnt 0x0
	s_and_b32 s19, s4, 0xffff
	s_cmp_eq_u32 s2, 0
	s_load_b128 s[4:7], s[0:1], 0x28
	s_cselect_b32 s2, ttmp9, s8
	s_clause 0x1
	s_load_b32 s18, s[0:1], 0x0
	s_load_b128 s[8:11], s[0:1], 0x48
	v_lshl_add_u32 v0, s2, 6, v12
	v_mov_b32_e32 v3, 0
	v_mad_u32_u24 v14, v2, s19, v12
	v_cmp_eq_u32_e64 s2, 0, v2
	s_delay_alu instid0(VALU_DEP_4) | instskip(NEXT) | instid1(VALU_DEP_4)
	v_ashrrev_i32_e32 v1, 31, v0
	v_mul_u64_e32 v[6:7], s[20:21], v[2:3]
	v_mul_u64_e32 v[10:11], s[22:23], v[2:3]
	v_mul_u32_u24_e32 v3, s19, v2
	s_wait_xcnt 0x0
	v_cmp_gt_u32_e64 s1, 64, v14
	v_mul_u64_e32 v[4:5], s[22:23], v[0:1]
	v_lshlrev_b64_e32 v[8:9], 3, v[0:1]
	s_lshl_b64 s[14:15], s[14:15], 3
	v_lshl_add_u32 v1, v3, 3, v15
	v_add_nc_u32_e32 v3, v15, v16
	s_wait_kmcnt 0x0
	s_lshl_b64 s[6:7], s[6:7], 3
	v_cmp_gt_i32_e32 vcc_lo, s18, v0
	v_cmp_gt_i32_e64 s0, s18, v2
	s_and_b32 s19, s2, vcc_lo
	v_lshl_add_u64 v[12:13], v[6:7], 3, s[14:15]
	v_add_nc_u64_e32 v[6:7], s[8:9], v[8:9]
	v_lshl_add_u64 v[10:11], v[10:11], 3, s[6:7]
	s_lshl_b64 s[8:9], s[22:23], 7
	s_lshl_b64 s[14:15], s[20:21], 7
	v_add_nc_u64_e32 v[8:9], v[12:13], v[8:9]
	s_branch .LBB66_3
.LBB66_2:                               ;   in Loop: Header=BB66_3 Depth=1
	s_wait_xcnt 0x0
	s_or_b32 exec_lo, exec_lo, s2
	s_add_co_i32 s16, s16, 0x10000
	s_delay_alu instid0(SALU_CYCLE_1)
	s_cmp_lt_u32 s16, s3
	s_cbranch_scc0 .LBB66_14
.LBB66_3:                               ; =>This Loop Header: Depth=1
                                        ;     Child Loop BB66_8 Depth 2
	v_mov_b32_e32 v12, s16
	s_clause 0x1
	global_load_b64 v[16:17], v12, s[12:13] scale_offset
	global_load_b64 v[14:15], v12, s[4:5] scale_offset
	s_wait_xcnt 0x0
	v_mov_b64_e32 v[12:13], 0
	s_and_saveexec_b32 s2, s19
	s_cbranch_execz .LBB66_5
; %bb.4:                                ;   in Loop: Header=BB66_3 Depth=1
	s_wait_loadcnt 0x0
	v_add_nc_u64_e32 v[12:13], s[6:7], v[14:15]
	s_delay_alu instid0(VALU_DEP_1)
	v_lshl_add_u64 v[12:13], v[4:5], 3, v[12:13]
	flat_load_b64 v[12:13], v[12:13]
.LBB66_5:                               ;   in Loop: Header=BB66_3 Depth=1
	s_wait_xcnt 0x0
	s_or_b32 exec_lo, exec_lo, s2
	s_and_saveexec_b32 s20, s0
	s_cbranch_execz .LBB66_11
; %bb.6:                                ;   in Loop: Header=BB66_3 Depth=1
	s_wait_loadcnt 0x0
	v_add_nc_u64_e32 v[14:15], v[14:15], v[10:11]
	v_add_nc_u64_e32 v[16:17], v[16:17], v[8:9]
	v_mov_b32_e32 v18, v2
	s_mov_b32 s21, 0
	s_branch .LBB66_8
.LBB66_7:                               ;   in Loop: Header=BB66_8 Depth=2
	s_wait_xcnt 0x0
	s_or_b32 exec_lo, exec_lo, s2
	v_add_nc_u32_e32 v18, 16, v18
	v_add_nc_u64_e32 v[14:15], s[8:9], v[14:15]
	v_add_nc_u64_e32 v[16:17], s[14:15], v[16:17]
	s_delay_alu instid0(VALU_DEP_3) | instskip(SKIP_1) | instid1(SALU_CYCLE_1)
	v_cmp_le_i32_e64 s2, s18, v18
	s_or_b32 s21, s2, s21
	s_and_not1_b32 exec_lo, exec_lo, s21
	s_cbranch_execz .LBB66_10
.LBB66_8:                               ;   Parent Loop BB66_3 Depth=1
                                        ; =>  This Inner Loop Header: Depth=2
	s_delay_alu instid0(VALU_DEP_1) | instskip(SKIP_1) | instid1(SALU_CYCLE_1)
	v_cmp_lt_i32_e64 s2, v18, v0
	s_and_b32 s22, vcc_lo, s2
	s_and_saveexec_b32 s2, s22
	s_cbranch_execz .LBB66_7
; %bb.9:                                ;   in Loop: Header=BB66_8 Depth=2
	flat_load_b64 v[20:21], v[16:17]
	flat_load_b64 v[22:23], v[14:15]
	s_wait_loadcnt_dscnt 0x0
	v_fmac_f64_e32 v[12:13], v[20:21], v[22:23]
	s_branch .LBB66_7
.LBB66_10:                              ;   in Loop: Header=BB66_3 Depth=1
	s_or_b32 exec_lo, exec_lo, s21
.LBB66_11:                              ;   in Loop: Header=BB66_3 Depth=1
	s_delay_alu instid0(SALU_CYCLE_1)
	s_or_b32 exec_lo, exec_lo, s20
	s_wait_loadcnt_dscnt 0x0
	ds_store_b64 v3, v[12:13]
	s_wait_dscnt 0x0
	s_barrier_signal -1
	s_barrier_wait -1
	s_and_saveexec_b32 s2, s1
	s_cbranch_execz .LBB66_2
; %bb.12:                               ;   in Loop: Header=BB66_3 Depth=1
	ds_load_2addr_stride64_b64 v[12:15], v1 offset1:1
	ds_load_2addr_stride64_b64 v[16:19], v1 offset0:2 offset1:3
	s_wait_dscnt 0x1
	v_add_f64_e32 v[12:13], v[12:13], v[14:15]
	s_wait_dscnt 0x0
	s_delay_alu instid0(VALU_DEP_1) | instskip(NEXT) | instid1(VALU_DEP_1)
	v_add_f64_e32 v[12:13], v[16:17], v[12:13]
	v_add_f64_e32 v[20:21], v[18:19], v[12:13]
	ds_load_2addr_stride64_b64 v[12:15], v1 offset0:4 offset1:5
	ds_load_2addr_stride64_b64 v[16:19], v1 offset0:6 offset1:7
	s_wait_dscnt 0x1
	v_add_f64_e32 v[12:13], v[12:13], v[20:21]
	s_delay_alu instid0(VALU_DEP_1) | instskip(SKIP_1) | instid1(VALU_DEP_1)
	v_add_f64_e32 v[12:13], v[14:15], v[12:13]
	s_wait_dscnt 0x0
	v_add_f64_e32 v[12:13], v[16:17], v[12:13]
	s_delay_alu instid0(VALU_DEP_1) | instskip(SKIP_4) | instid1(VALU_DEP_1)
	v_add_f64_e32 v[20:21], v[18:19], v[12:13]
	ds_load_2addr_stride64_b64 v[12:15], v1 offset0:8 offset1:9
	ds_load_2addr_stride64_b64 v[16:19], v1 offset0:10 offset1:11
	s_wait_dscnt 0x1
	v_add_f64_e32 v[12:13], v[12:13], v[20:21]
	v_add_f64_e32 v[12:13], v[14:15], v[12:13]
	s_wait_dscnt 0x0
	s_delay_alu instid0(VALU_DEP_1) | instskip(NEXT) | instid1(VALU_DEP_1)
	v_add_f64_e32 v[12:13], v[16:17], v[12:13]
	v_add_f64_e32 v[20:21], v[18:19], v[12:13]
	ds_load_2addr_stride64_b64 v[12:15], v1 offset0:12 offset1:13
	ds_load_2addr_stride64_b64 v[16:19], v1 offset0:14 offset1:15
	s_wait_dscnt 0x1
	v_add_f64_e32 v[12:13], v[12:13], v[20:21]
	s_delay_alu instid0(VALU_DEP_1) | instskip(SKIP_1) | instid1(VALU_DEP_1)
	v_add_f64_e32 v[12:13], v[14:15], v[12:13]
	s_wait_dscnt 0x0
	v_add_f64_e32 v[12:13], v[16:17], v[12:13]
	s_delay_alu instid0(VALU_DEP_1)
	v_add_f64_e32 v[12:13], v[18:19], v[12:13]
	ds_store_b64 v1, v[12:13]
	s_and_b32 exec_lo, exec_lo, vcc_lo
	s_cbranch_execz .LBB66_2
; %bb.13:                               ;   in Loop: Header=BB66_3 Depth=1
	s_mul_u64 s[20:21], s[10:11], s[16:17]
	s_delay_alu instid0(SALU_CYCLE_1)
	v_lshl_add_u64 v[14:15], s[20:21], 3, v[6:7]
	global_store_b64 v[14:15], v[12:13], off
	s_branch .LBB66_2
.LBB66_14:
	s_endpgm
	.section	.rodata,"a",@progbits
	.p2align	6, 0x0
	.amdhsa_kernel _ZL20rocblas_trmvn_kernelILi64ELi16ELb1ELb1EPKPKdPKPdS4_EviT3_lllT4_lllT5_li
		.amdhsa_group_segment_fixed_size 8192
		.amdhsa_private_segment_fixed_size 0
		.amdhsa_kernarg_size 352
		.amdhsa_user_sgpr_count 2
		.amdhsa_user_sgpr_dispatch_ptr 0
		.amdhsa_user_sgpr_queue_ptr 0
		.amdhsa_user_sgpr_kernarg_segment_ptr 1
		.amdhsa_user_sgpr_dispatch_id 0
		.amdhsa_user_sgpr_kernarg_preload_length 0
		.amdhsa_user_sgpr_kernarg_preload_offset 0
		.amdhsa_user_sgpr_private_segment_size 0
		.amdhsa_wavefront_size32 1
		.amdhsa_uses_dynamic_stack 0
		.amdhsa_enable_private_segment 0
		.amdhsa_system_sgpr_workgroup_id_x 1
		.amdhsa_system_sgpr_workgroup_id_y 0
		.amdhsa_system_sgpr_workgroup_id_z 1
		.amdhsa_system_sgpr_workgroup_info 0
		.amdhsa_system_vgpr_workitem_id 1
		.amdhsa_next_free_vgpr 24
		.amdhsa_next_free_sgpr 24
		.amdhsa_named_barrier_count 0
		.amdhsa_reserve_vcc 1
		.amdhsa_float_round_mode_32 0
		.amdhsa_float_round_mode_16_64 0
		.amdhsa_float_denorm_mode_32 3
		.amdhsa_float_denorm_mode_16_64 3
		.amdhsa_fp16_overflow 0
		.amdhsa_memory_ordered 1
		.amdhsa_forward_progress 1
		.amdhsa_inst_pref_size 7
		.amdhsa_round_robin_scheduling 0
		.amdhsa_exception_fp_ieee_invalid_op 0
		.amdhsa_exception_fp_denorm_src 0
		.amdhsa_exception_fp_ieee_div_zero 0
		.amdhsa_exception_fp_ieee_overflow 0
		.amdhsa_exception_fp_ieee_underflow 0
		.amdhsa_exception_fp_ieee_inexact 0
		.amdhsa_exception_int_div_zero 0
	.end_amdhsa_kernel
	.section	.text._ZL20rocblas_trmvn_kernelILi64ELi16ELb1ELb1EPKPKdPKPdS4_EviT3_lllT4_lllT5_li,"axG",@progbits,_ZL20rocblas_trmvn_kernelILi64ELi16ELb1ELb1EPKPKdPKPdS4_EviT3_lllT4_lllT5_li,comdat
.Lfunc_end66:
	.size	_ZL20rocblas_trmvn_kernelILi64ELi16ELb1ELb1EPKPKdPKPdS4_EviT3_lllT4_lllT5_li, .Lfunc_end66-_ZL20rocblas_trmvn_kernelILi64ELi16ELb1ELb1EPKPKdPKPdS4_EviT3_lllT4_lllT5_li
                                        ; -- End function
	.set _ZL20rocblas_trmvn_kernelILi64ELi16ELb1ELb1EPKPKdPKPdS4_EviT3_lllT4_lllT5_li.num_vgpr, 24
	.set _ZL20rocblas_trmvn_kernelILi64ELi16ELb1ELb1EPKPKdPKPdS4_EviT3_lllT4_lllT5_li.num_agpr, 0
	.set _ZL20rocblas_trmvn_kernelILi64ELi16ELb1ELb1EPKPKdPKPdS4_EviT3_lllT4_lllT5_li.numbered_sgpr, 24
	.set _ZL20rocblas_trmvn_kernelILi64ELi16ELb1ELb1EPKPKdPKPdS4_EviT3_lllT4_lllT5_li.num_named_barrier, 0
	.set _ZL20rocblas_trmvn_kernelILi64ELi16ELb1ELb1EPKPKdPKPdS4_EviT3_lllT4_lllT5_li.private_seg_size, 0
	.set _ZL20rocblas_trmvn_kernelILi64ELi16ELb1ELb1EPKPKdPKPdS4_EviT3_lllT4_lllT5_li.uses_vcc, 1
	.set _ZL20rocblas_trmvn_kernelILi64ELi16ELb1ELb1EPKPKdPKPdS4_EviT3_lllT4_lllT5_li.uses_flat_scratch, 0
	.set _ZL20rocblas_trmvn_kernelILi64ELi16ELb1ELb1EPKPKdPKPdS4_EviT3_lllT4_lllT5_li.has_dyn_sized_stack, 0
	.set _ZL20rocblas_trmvn_kernelILi64ELi16ELb1ELb1EPKPKdPKPdS4_EviT3_lllT4_lllT5_li.has_recursion, 0
	.set _ZL20rocblas_trmvn_kernelILi64ELi16ELb1ELb1EPKPKdPKPdS4_EviT3_lllT4_lllT5_li.has_indirect_call, 0
	.section	.AMDGPU.csdata,"",@progbits
; Kernel info:
; codeLenInByte = 880
; TotalNumSgprs: 26
; NumVgprs: 24
; ScratchSize: 0
; MemoryBound: 1
; FloatMode: 240
; IeeeMode: 1
; LDSByteSize: 8192 bytes/workgroup (compile time only)
; SGPRBlocks: 0
; VGPRBlocks: 1
; NumSGPRsForWavesPerEU: 26
; NumVGPRsForWavesPerEU: 24
; NamedBarCnt: 0
; Occupancy: 16
; WaveLimiterHint : 1
; COMPUTE_PGM_RSRC2:SCRATCH_EN: 0
; COMPUTE_PGM_RSRC2:USER_SGPR: 2
; COMPUTE_PGM_RSRC2:TRAP_HANDLER: 0
; COMPUTE_PGM_RSRC2:TGID_X_EN: 1
; COMPUTE_PGM_RSRC2:TGID_Y_EN: 0
; COMPUTE_PGM_RSRC2:TGID_Z_EN: 1
; COMPUTE_PGM_RSRC2:TIDIG_COMP_CNT: 1
	.section	.text._ZL20rocblas_trmvt_kernelILi512ELb1ELb0ELb1EPKPKdPKPdS4_EviT3_lllT4_lllT5_li,"axG",@progbits,_ZL20rocblas_trmvt_kernelILi512ELb1ELb0ELb1EPKPKdPKPdS4_EviT3_lllT4_lllT5_li,comdat
	.globl	_ZL20rocblas_trmvt_kernelILi512ELb1ELb0ELb1EPKPKdPKPdS4_EviT3_lllT4_lllT5_li ; -- Begin function _ZL20rocblas_trmvt_kernelILi512ELb1ELb0ELb1EPKPKdPKPdS4_EviT3_lllT4_lllT5_li
	.p2align	8
	.type	_ZL20rocblas_trmvt_kernelILi512ELb1ELb0ELb1EPKPKdPKPdS4_EviT3_lllT4_lllT5_li,@function
_ZL20rocblas_trmvt_kernelILi512ELb1ELb0ELb1EPKPKdPKPdS4_EviT3_lllT4_lllT5_li: ; @_ZL20rocblas_trmvt_kernelILi512ELb1ELb0ELb1EPKPKdPKPdS4_EviT3_lllT4_lllT5_li
; %bb.0:
	s_load_b32 s28, s[0:1], 0x58
	s_bfe_u32 s2, ttmp6, 0x40014
	s_lshr_b32 s4, ttmp7, 16
	s_add_co_i32 s2, s2, 1
	s_bfe_u32 s5, ttmp6, 0x40008
	s_mul_i32 s2, s4, s2
	s_getreg_b32 s3, hwreg(HW_REG_IB_STS2, 6, 4)
	s_add_co_i32 s5, s5, s2
	s_cmp_eq_u32 s3, 0
	s_mov_b32 s17, 0
	s_cselect_b32 s16, s4, s5
	s_wait_kmcnt 0x0
	s_cmp_ge_u32 s16, s28
	s_cbranch_scc1 .LBB67_21
; %bb.1:
	s_clause 0x5
	s_load_b64 s[24:25], s[0:1], 0x38
	s_load_b32 s29, s[0:1], 0x0
	s_load_b128 s[8:11], s[0:1], 0x8
	s_load_b64 s[20:21], s[0:1], 0x18
	s_load_b128 s[12:15], s[0:1], 0x28
	s_load_b128 s[4:7], s[0:1], 0x48
	v_dual_mov_b32 v3, 0 :: v_dual_bitop2_b32 v2, 31, v0 bitop3:0x40
	v_mbcnt_lo_u32_b32 v8, -1, 0
	s_bfe_u32 s2, ttmp6, 0x4000c
	s_delay_alu instid0(VALU_DEP_2)
	v_dual_lshrrev_b32 v9, 2, v0 :: v_dual_mov_b32 v1, v3
	s_add_co_i32 s2, s2, 1
	s_and_b32 s18, ttmp6, 15
	s_mul_i32 s19, ttmp9, s2
	v_cmp_gt_u32_e64 s2, 24, v8
	s_add_co_i32 s18, s18, s19
	s_cmp_eq_u32 s3, 0
	v_mov_b64_e32 v[4:5], 0
	s_cselect_b32 s18, ttmp9, s18
	s_wait_kmcnt 0x0
	v_mul_u64_e32 v[6:7], s[24:25], v[0:1]
	v_cndmask_b32_e64 v10, 0, 8, s2
	v_cmp_gt_u32_e64 s2, 28, v8
	v_cmp_gt_i32_e64 s3, s29, v0
	s_lshl_b64 s[14:15], s[14:15], 3
	s_ashr_i32 s19, s18, 31
	v_cmp_gt_u32_e64 s0, 32, v0
	v_cndmask_b32_e64 v11, 0, 4, s2
	v_cmp_gt_u32_e64 s2, 30, v8
	v_cmp_gt_u32_e64 s1, 16, v0
	v_lshl_or_b32 v14, v8, 2, 64
	v_and_b32_e32 v15, 0x78, v9
	v_add_lshl_u32 v16, v10, v8, 2
	v_cndmask_b32_e64 v12, 0, 2, s2
	v_cmp_ne_u32_e64 s2, 31, v8
	v_add_lshl_u32 v17, v11, v8, 2
	s_lshl_b64 s[22:23], s[18:19], 3
	s_mul_u64 s[26:27], s[24:25], s[18:19]
	v_add_lshl_u32 v18, v12, v8, 2
	v_add_co_ci_u32_e64 v13, null, 0, v8, s2
	v_lshlrev_b32_e32 v1, 3, v2
	v_cmp_eq_u32_e64 s2, 0, v2
	s_delay_alu instid0(VALU_DEP_3) | instskip(SKIP_3) | instid1(VALU_DEP_1)
	v_dual_cndmask_b32 v2, 0, v0, s3 :: v_dual_lshlrev_b32 v19, 2, v13
	s_mul_u64 s[20:21], s[20:21], s[18:19]
	s_add_nc_u64 s[22:23], s[4:5], s[22:23]
	s_lshl_b64 s[24:25], s[24:25], 12
	v_lshlrev_b32_e32 v2, 3, v2
	s_lshl_b64 s[26:27], s[26:27], 3
	s_lshl_b64 s[10:11], s[10:11], 3
	v_cmp_eq_u32_e32 vcc_lo, 0, v0
	v_lshl_add_u64 v[6:7], v[6:7], 3, s[14:15]
	s_branch .LBB67_3
.LBB67_2:                               ;   in Loop: Header=BB67_3 Depth=1
	s_wait_xcnt 0x0
	s_or_b32 exec_lo, exec_lo, s4
	s_add_co_i32 s16, s16, 0x10000
	s_delay_alu instid0(SALU_CYCLE_1)
	s_cmp_lt_u32 s16, s28
	s_cbranch_scc0 .LBB67_21
.LBB67_3:                               ; =>This Loop Header: Depth=1
                                        ;     Child Loop BB67_15 Depth 2
	s_wait_dscnt 0x0
	v_mov_b32_e32 v8, s16
	s_clause 0x1
	global_load_b64 v[12:13], v8, s[8:9] scale_offset
	global_load_b64 v[10:11], v8, s[12:13] scale_offset
	s_wait_xcnt 0x0
	v_mov_b64_e32 v[8:9], 0
	s_and_saveexec_b32 s4, vcc_lo
	s_cbranch_execnz .LBB67_12
; %bb.4:                                ;   in Loop: Header=BB67_3 Depth=1
	s_or_b32 exec_lo, exec_lo, s4
	s_and_saveexec_b32 s5, s3
	s_cbranch_execnz .LBB67_13
.LBB67_5:                               ;   in Loop: Header=BB67_3 Depth=1
	s_or_b32 exec_lo, exec_lo, s5
	s_and_saveexec_b32 s4, s0
.LBB67_6:                               ;   in Loop: Header=BB67_3 Depth=1
	ds_store_b64 v1, v[4:5]
.LBB67_7:                               ;   in Loop: Header=BB67_3 Depth=1
	s_or_b32 exec_lo, exec_lo, s4
	s_wait_loadcnt 0x0
	ds_bpermute_b32 v10, v14, v8
	ds_bpermute_b32 v11, v14, v9
	s_wait_dscnt 0x0
	s_barrier_signal -1
	s_barrier_wait -1
	v_add_f64_e32 v[8:9], v[8:9], v[10:11]
	ds_bpermute_b32 v10, v16, v8
	ds_bpermute_b32 v11, v16, v9
	s_wait_dscnt 0x0
	v_add_f64_e32 v[8:9], v[8:9], v[10:11]
	ds_bpermute_b32 v10, v17, v8
	ds_bpermute_b32 v11, v17, v9
	s_wait_dscnt 0x0
	v_add_f64_e32 v[8:9], v[8:9], v[10:11]
	ds_bpermute_b32 v10, v18, v8
	ds_bpermute_b32 v11, v18, v9
	s_wait_dscnt 0x0
	v_add_f64_e32 v[8:9], v[8:9], v[10:11]
	ds_bpermute_b32 v10, v19, v8
	ds_bpermute_b32 v11, v19, v9
	s_and_saveexec_b32 s4, s2
	s_cbranch_execz .LBB67_9
; %bb.8:                                ;   in Loop: Header=BB67_3 Depth=1
	s_wait_dscnt 0x0
	v_add_f64_e32 v[8:9], v[8:9], v[10:11]
	ds_store_b64 v15, v[8:9]
.LBB67_9:                               ;   in Loop: Header=BB67_3 Depth=1
	s_or_b32 exec_lo, exec_lo, s4
	v_mov_b64_e32 v[8:9], 0
	s_wait_dscnt 0x0
	s_barrier_signal -1
	s_barrier_wait -1
	s_and_saveexec_b32 s4, s1
	s_cbranch_execnz .LBB67_17
; %bb.10:                               ;   in Loop: Header=BB67_3 Depth=1
	s_or_b32 exec_lo, exec_lo, s4
	s_and_saveexec_b32 s4, s0
	s_cbranch_execnz .LBB67_18
.LBB67_11:                              ;   in Loop: Header=BB67_3 Depth=1
	s_or_b32 exec_lo, exec_lo, s4
	s_and_saveexec_b32 s4, vcc_lo
	s_cbranch_execz .LBB67_2
	s_branch .LBB67_19
.LBB67_12:                              ;   in Loop: Header=BB67_3 Depth=1
	s_wait_loadcnt 0x0
	v_add_nc_u64_e32 v[8:9], s[14:15], v[10:11]
	s_delay_alu instid0(VALU_DEP_1)
	v_add_nc_u64_e32 v[8:9], s[26:27], v[8:9]
	flat_load_b64 v[8:9], v[8:9]
	s_wait_loadcnt_dscnt 0x0
	s_wait_xcnt 0x0
	v_add_f64_e32 v[8:9], 0, v[8:9]
	s_or_b32 exec_lo, exec_lo, s4
	s_and_saveexec_b32 s5, s3
	s_cbranch_execz .LBB67_5
.LBB67_13:                              ;   in Loop: Header=BB67_3 Depth=1
	s_wait_loadcnt 0x1
	v_add_nc_u64_e32 v[12:13], s[10:11], v[12:13]
	s_wait_loadcnt 0x0
	v_add_nc_u64_e32 v[10:11], v[10:11], v[6:7]
	v_mov_b32_e32 v20, v0
	s_mov_b32 s19, 0
	s_delay_alu instid0(VALU_DEP_3) | instskip(NEXT) | instid1(VALU_DEP_1)
	v_add_nc_u64_e32 v[12:13], v[12:13], v[2:3]
	v_lshl_add_u64 v[12:13], s[20:21], 3, v[12:13]
	s_branch .LBB67_15
.LBB67_14:                              ;   in Loop: Header=BB67_15 Depth=2
	s_wait_xcnt 0x0
	s_or_b32 exec_lo, exec_lo, s30
	v_add_nc_u32_e32 v20, 0x200, v20
	v_add_nc_u64_e32 v[12:13], 0x1000, v[12:13]
	v_add_nc_u64_e32 v[10:11], s[24:25], v[10:11]
	s_delay_alu instid0(VALU_DEP_3) | instskip(SKIP_1) | instid1(SALU_CYCLE_1)
	v_cmp_le_i32_e64 s4, s29, v20
	s_or_b32 s19, s4, s19
	s_and_not1_b32 exec_lo, exec_lo, s19
	s_cbranch_execz .LBB67_20
.LBB67_15:                              ;   Parent Loop BB67_3 Depth=1
                                        ; =>  This Inner Loop Header: Depth=2
	s_mov_b32 s30, exec_lo
	v_cmpx_lt_i32_e64 s18, v20
	s_cbranch_execz .LBB67_14
; %bb.16:                               ;   in Loop: Header=BB67_15 Depth=2
	flat_load_b64 v[22:23], v[12:13]
	flat_load_b64 v[24:25], v[10:11]
	s_wait_loadcnt_dscnt 0x0
	v_fmac_f64_e32 v[8:9], v[22:23], v[24:25]
	s_branch .LBB67_14
.LBB67_17:                              ;   in Loop: Header=BB67_3 Depth=1
	ds_load_b64 v[8:9], v1
	s_or_b32 exec_lo, exec_lo, s4
	s_and_saveexec_b32 s4, s0
	s_cbranch_execz .LBB67_11
.LBB67_18:                              ;   in Loop: Header=BB67_3 Depth=1
	s_wait_dscnt 0x0
	ds_bpermute_b32 v10, v16, v8
	ds_bpermute_b32 v11, v16, v9
	s_wait_dscnt 0x0
	v_add_f64_e32 v[8:9], v[8:9], v[10:11]
	ds_bpermute_b32 v10, v17, v8
	ds_bpermute_b32 v11, v17, v9
	s_wait_dscnt 0x0
	v_add_f64_e32 v[8:9], v[8:9], v[10:11]
	;; [unrolled: 4-line block ×4, first 2 shown]
	s_or_b32 exec_lo, exec_lo, s4
	s_and_saveexec_b32 s4, vcc_lo
	s_cbranch_execz .LBB67_2
.LBB67_19:                              ;   in Loop: Header=BB67_3 Depth=1
	s_mul_u64 s[30:31], s[6:7], s[16:17]
	s_delay_alu instid0(SALU_CYCLE_1) | instskip(NEXT) | instid1(SALU_CYCLE_1)
	s_lshl_b64 s[30:31], s[30:31], 3
	s_add_nc_u64 s[30:31], s[22:23], s[30:31]
	s_wait_dscnt 0x0
	global_store_b64 v3, v[8:9], s[30:31]
	s_branch .LBB67_2
.LBB67_20:                              ;   in Loop: Header=BB67_3 Depth=1
	s_or_b32 exec_lo, exec_lo, s19
	s_delay_alu instid0(SALU_CYCLE_1)
	s_or_b32 exec_lo, exec_lo, s5
	s_and_saveexec_b32 s4, s0
	s_cbranch_execnz .LBB67_6
	s_branch .LBB67_7
.LBB67_21:
	s_endpgm
	.section	.rodata,"a",@progbits
	.p2align	6, 0x0
	.amdhsa_kernel _ZL20rocblas_trmvt_kernelILi512ELb1ELb0ELb1EPKPKdPKPdS4_EviT3_lllT4_lllT5_li
		.amdhsa_group_segment_fixed_size 256
		.amdhsa_private_segment_fixed_size 0
		.amdhsa_kernarg_size 92
		.amdhsa_user_sgpr_count 2
		.amdhsa_user_sgpr_dispatch_ptr 0
		.amdhsa_user_sgpr_queue_ptr 0
		.amdhsa_user_sgpr_kernarg_segment_ptr 1
		.amdhsa_user_sgpr_dispatch_id 0
		.amdhsa_user_sgpr_kernarg_preload_length 0
		.amdhsa_user_sgpr_kernarg_preload_offset 0
		.amdhsa_user_sgpr_private_segment_size 0
		.amdhsa_wavefront_size32 1
		.amdhsa_uses_dynamic_stack 0
		.amdhsa_enable_private_segment 0
		.amdhsa_system_sgpr_workgroup_id_x 1
		.amdhsa_system_sgpr_workgroup_id_y 0
		.amdhsa_system_sgpr_workgroup_id_z 1
		.amdhsa_system_sgpr_workgroup_info 0
		.amdhsa_system_vgpr_workitem_id 0
		.amdhsa_next_free_vgpr 26
		.amdhsa_next_free_sgpr 32
		.amdhsa_named_barrier_count 0
		.amdhsa_reserve_vcc 1
		.amdhsa_float_round_mode_32 0
		.amdhsa_float_round_mode_16_64 0
		.amdhsa_float_denorm_mode_32 3
		.amdhsa_float_denorm_mode_16_64 3
		.amdhsa_fp16_overflow 0
		.amdhsa_memory_ordered 1
		.amdhsa_forward_progress 1
		.amdhsa_inst_pref_size 9
		.amdhsa_round_robin_scheduling 0
		.amdhsa_exception_fp_ieee_invalid_op 0
		.amdhsa_exception_fp_denorm_src 0
		.amdhsa_exception_fp_ieee_div_zero 0
		.amdhsa_exception_fp_ieee_overflow 0
		.amdhsa_exception_fp_ieee_underflow 0
		.amdhsa_exception_fp_ieee_inexact 0
		.amdhsa_exception_int_div_zero 0
	.end_amdhsa_kernel
	.section	.text._ZL20rocblas_trmvt_kernelILi512ELb1ELb0ELb1EPKPKdPKPdS4_EviT3_lllT4_lllT5_li,"axG",@progbits,_ZL20rocblas_trmvt_kernelILi512ELb1ELb0ELb1EPKPKdPKPdS4_EviT3_lllT4_lllT5_li,comdat
.Lfunc_end67:
	.size	_ZL20rocblas_trmvt_kernelILi512ELb1ELb0ELb1EPKPKdPKPdS4_EviT3_lllT4_lllT5_li, .Lfunc_end67-_ZL20rocblas_trmvt_kernelILi512ELb1ELb0ELb1EPKPKdPKPdS4_EviT3_lllT4_lllT5_li
                                        ; -- End function
	.set _ZL20rocblas_trmvt_kernelILi512ELb1ELb0ELb1EPKPKdPKPdS4_EviT3_lllT4_lllT5_li.num_vgpr, 26
	.set _ZL20rocblas_trmvt_kernelILi512ELb1ELb0ELb1EPKPKdPKPdS4_EviT3_lllT4_lllT5_li.num_agpr, 0
	.set _ZL20rocblas_trmvt_kernelILi512ELb1ELb0ELb1EPKPKdPKPdS4_EviT3_lllT4_lllT5_li.numbered_sgpr, 32
	.set _ZL20rocblas_trmvt_kernelILi512ELb1ELb0ELb1EPKPKdPKPdS4_EviT3_lllT4_lllT5_li.num_named_barrier, 0
	.set _ZL20rocblas_trmvt_kernelILi512ELb1ELb0ELb1EPKPKdPKPdS4_EviT3_lllT4_lllT5_li.private_seg_size, 0
	.set _ZL20rocblas_trmvt_kernelILi512ELb1ELb0ELb1EPKPKdPKPdS4_EviT3_lllT4_lllT5_li.uses_vcc, 1
	.set _ZL20rocblas_trmvt_kernelILi512ELb1ELb0ELb1EPKPKdPKPdS4_EviT3_lllT4_lllT5_li.uses_flat_scratch, 0
	.set _ZL20rocblas_trmvt_kernelILi512ELb1ELb0ELb1EPKPKdPKPdS4_EviT3_lllT4_lllT5_li.has_dyn_sized_stack, 0
	.set _ZL20rocblas_trmvt_kernelILi512ELb1ELb0ELb1EPKPKdPKPdS4_EviT3_lllT4_lllT5_li.has_recursion, 0
	.set _ZL20rocblas_trmvt_kernelILi512ELb1ELb0ELb1EPKPKdPKPdS4_EviT3_lllT4_lllT5_li.has_indirect_call, 0
	.section	.AMDGPU.csdata,"",@progbits
; Kernel info:
; codeLenInByte = 1124
; TotalNumSgprs: 34
; NumVgprs: 26
; ScratchSize: 0
; MemoryBound: 1
; FloatMode: 240
; IeeeMode: 1
; LDSByteSize: 256 bytes/workgroup (compile time only)
; SGPRBlocks: 0
; VGPRBlocks: 1
; NumSGPRsForWavesPerEU: 34
; NumVGPRsForWavesPerEU: 26
; NamedBarCnt: 0
; Occupancy: 16
; WaveLimiterHint : 1
; COMPUTE_PGM_RSRC2:SCRATCH_EN: 0
; COMPUTE_PGM_RSRC2:USER_SGPR: 2
; COMPUTE_PGM_RSRC2:TRAP_HANDLER: 0
; COMPUTE_PGM_RSRC2:TGID_X_EN: 1
; COMPUTE_PGM_RSRC2:TGID_Y_EN: 0
; COMPUTE_PGM_RSRC2:TGID_Z_EN: 1
; COMPUTE_PGM_RSRC2:TIDIG_COMP_CNT: 0
	.section	.text._ZL20rocblas_trmvt_kernelILi512ELb1ELb1ELb1EPKPKdPKPdS4_EviT3_lllT4_lllT5_li,"axG",@progbits,_ZL20rocblas_trmvt_kernelILi512ELb1ELb1ELb1EPKPKdPKPdS4_EviT3_lllT4_lllT5_li,comdat
	.globl	_ZL20rocblas_trmvt_kernelILi512ELb1ELb1ELb1EPKPKdPKPdS4_EviT3_lllT4_lllT5_li ; -- Begin function _ZL20rocblas_trmvt_kernelILi512ELb1ELb1ELb1EPKPKdPKPdS4_EviT3_lllT4_lllT5_li
	.p2align	8
	.type	_ZL20rocblas_trmvt_kernelILi512ELb1ELb1ELb1EPKPKdPKPdS4_EviT3_lllT4_lllT5_li,@function
_ZL20rocblas_trmvt_kernelILi512ELb1ELb1ELb1EPKPKdPKPdS4_EviT3_lllT4_lllT5_li: ; @_ZL20rocblas_trmvt_kernelILi512ELb1ELb1ELb1EPKPKdPKPdS4_EviT3_lllT4_lllT5_li
; %bb.0:
	s_load_b32 s28, s[0:1], 0x58
	s_bfe_u32 s2, ttmp6, 0x40014
	s_lshr_b32 s4, ttmp7, 16
	s_add_co_i32 s2, s2, 1
	s_bfe_u32 s5, ttmp6, 0x40008
	s_mul_i32 s2, s4, s2
	s_getreg_b32 s3, hwreg(HW_REG_IB_STS2, 6, 4)
	s_add_co_i32 s5, s5, s2
	s_cmp_eq_u32 s3, 0
	s_mov_b32 s17, 0
	s_cselect_b32 s16, s4, s5
	s_wait_kmcnt 0x0
	s_cmp_ge_u32 s16, s28
	s_cbranch_scc1 .LBB68_21
; %bb.1:
	s_clause 0x5
	s_load_b64 s[24:25], s[0:1], 0x38
	s_load_b32 s29, s[0:1], 0x0
	s_load_b128 s[8:11], s[0:1], 0x8
	s_load_b64 s[20:21], s[0:1], 0x18
	s_load_b128 s[12:15], s[0:1], 0x28
	s_load_b128 s[4:7], s[0:1], 0x48
	v_dual_mov_b32 v3, 0 :: v_dual_bitop2_b32 v2, 31, v0 bitop3:0x40
	v_mbcnt_lo_u32_b32 v8, -1, 0
	s_bfe_u32 s2, ttmp6, 0x4000c
	s_delay_alu instid0(VALU_DEP_2)
	v_dual_lshrrev_b32 v9, 2, v0 :: v_dual_mov_b32 v1, v3
	s_add_co_i32 s2, s2, 1
	s_and_b32 s18, ttmp6, 15
	s_mul_i32 s19, ttmp9, s2
	v_cmp_gt_u32_e64 s2, 24, v8
	s_add_co_i32 s18, s18, s19
	s_cmp_eq_u32 s3, 0
	v_mov_b64_e32 v[4:5], 0
	s_cselect_b32 s18, ttmp9, s18
	s_wait_kmcnt 0x0
	v_mul_u64_e32 v[6:7], s[24:25], v[0:1]
	v_cndmask_b32_e64 v10, 0, 8, s2
	v_cmp_gt_u32_e64 s2, 28, v8
	v_cmp_gt_i32_e64 s3, s29, v0
	s_lshl_b64 s[14:15], s[14:15], 3
	s_ashr_i32 s19, s18, 31
	v_cmp_gt_u32_e64 s0, 32, v0
	v_cndmask_b32_e64 v11, 0, 4, s2
	v_cmp_gt_u32_e64 s2, 30, v8
	v_cmp_gt_u32_e64 s1, 16, v0
	v_lshl_or_b32 v14, v8, 2, 64
	v_and_b32_e32 v15, 0x78, v9
	v_add_lshl_u32 v16, v10, v8, 2
	v_cndmask_b32_e64 v12, 0, 2, s2
	v_cmp_ne_u32_e64 s2, 31, v8
	v_add_lshl_u32 v17, v11, v8, 2
	s_lshl_b64 s[22:23], s[18:19], 3
	s_mul_u64 s[26:27], s[24:25], s[18:19]
	v_add_lshl_u32 v18, v12, v8, 2
	v_add_co_ci_u32_e64 v13, null, 0, v8, s2
	v_lshlrev_b32_e32 v1, 3, v2
	v_cmp_eq_u32_e64 s2, 0, v2
	s_delay_alu instid0(VALU_DEP_3) | instskip(SKIP_3) | instid1(VALU_DEP_1)
	v_dual_cndmask_b32 v2, 0, v0, s3 :: v_dual_lshlrev_b32 v19, 2, v13
	s_mul_u64 s[20:21], s[20:21], s[18:19]
	s_add_nc_u64 s[22:23], s[4:5], s[22:23]
	s_lshl_b64 s[24:25], s[24:25], 12
	v_lshlrev_b32_e32 v2, 3, v2
	s_lshl_b64 s[26:27], s[26:27], 3
	s_lshl_b64 s[10:11], s[10:11], 3
	v_cmp_eq_u32_e32 vcc_lo, 0, v0
	v_lshl_add_u64 v[6:7], v[6:7], 3, s[14:15]
	s_branch .LBB68_3
.LBB68_2:                               ;   in Loop: Header=BB68_3 Depth=1
	s_wait_xcnt 0x0
	s_or_b32 exec_lo, exec_lo, s4
	s_add_co_i32 s16, s16, 0x10000
	s_delay_alu instid0(SALU_CYCLE_1)
	s_cmp_lt_u32 s16, s28
	s_cbranch_scc0 .LBB68_21
.LBB68_3:                               ; =>This Loop Header: Depth=1
                                        ;     Child Loop BB68_15 Depth 2
	s_wait_dscnt 0x0
	v_mov_b32_e32 v8, s16
	s_clause 0x1
	global_load_b64 v[12:13], v8, s[8:9] scale_offset
	global_load_b64 v[10:11], v8, s[12:13] scale_offset
	s_wait_xcnt 0x0
	v_mov_b64_e32 v[8:9], 0
	s_and_saveexec_b32 s4, vcc_lo
	s_cbranch_execnz .LBB68_12
; %bb.4:                                ;   in Loop: Header=BB68_3 Depth=1
	s_or_b32 exec_lo, exec_lo, s4
	s_and_saveexec_b32 s5, s3
	s_cbranch_execnz .LBB68_13
.LBB68_5:                               ;   in Loop: Header=BB68_3 Depth=1
	s_or_b32 exec_lo, exec_lo, s5
	s_and_saveexec_b32 s4, s0
.LBB68_6:                               ;   in Loop: Header=BB68_3 Depth=1
	ds_store_b64 v1, v[4:5]
.LBB68_7:                               ;   in Loop: Header=BB68_3 Depth=1
	s_or_b32 exec_lo, exec_lo, s4
	s_wait_loadcnt 0x0
	ds_bpermute_b32 v10, v14, v8
	ds_bpermute_b32 v11, v14, v9
	s_wait_dscnt 0x0
	s_barrier_signal -1
	s_barrier_wait -1
	v_add_f64_e32 v[8:9], v[8:9], v[10:11]
	ds_bpermute_b32 v10, v16, v8
	ds_bpermute_b32 v11, v16, v9
	s_wait_dscnt 0x0
	v_add_f64_e32 v[8:9], v[8:9], v[10:11]
	ds_bpermute_b32 v10, v17, v8
	ds_bpermute_b32 v11, v17, v9
	s_wait_dscnt 0x0
	;; [unrolled: 4-line block ×3, first 2 shown]
	v_add_f64_e32 v[8:9], v[8:9], v[10:11]
	ds_bpermute_b32 v10, v19, v8
	ds_bpermute_b32 v11, v19, v9
	s_and_saveexec_b32 s4, s2
	s_cbranch_execz .LBB68_9
; %bb.8:                                ;   in Loop: Header=BB68_3 Depth=1
	s_wait_dscnt 0x0
	v_add_f64_e32 v[8:9], v[8:9], v[10:11]
	ds_store_b64 v15, v[8:9]
.LBB68_9:                               ;   in Loop: Header=BB68_3 Depth=1
	s_or_b32 exec_lo, exec_lo, s4
	v_mov_b64_e32 v[8:9], 0
	s_wait_dscnt 0x0
	s_barrier_signal -1
	s_barrier_wait -1
	s_and_saveexec_b32 s4, s1
	s_cbranch_execnz .LBB68_17
; %bb.10:                               ;   in Loop: Header=BB68_3 Depth=1
	s_or_b32 exec_lo, exec_lo, s4
	s_and_saveexec_b32 s4, s0
	s_cbranch_execnz .LBB68_18
.LBB68_11:                              ;   in Loop: Header=BB68_3 Depth=1
	s_or_b32 exec_lo, exec_lo, s4
	s_and_saveexec_b32 s4, vcc_lo
	s_cbranch_execz .LBB68_2
	s_branch .LBB68_19
.LBB68_12:                              ;   in Loop: Header=BB68_3 Depth=1
	s_wait_loadcnt 0x0
	v_add_nc_u64_e32 v[8:9], s[14:15], v[10:11]
	s_delay_alu instid0(VALU_DEP_1)
	v_add_nc_u64_e32 v[8:9], s[26:27], v[8:9]
	flat_load_b64 v[8:9], v[8:9]
	s_wait_loadcnt_dscnt 0x0
	s_wait_xcnt 0x0
	v_add_f64_e32 v[8:9], 0, v[8:9]
	s_or_b32 exec_lo, exec_lo, s4
	s_and_saveexec_b32 s5, s3
	s_cbranch_execz .LBB68_5
.LBB68_13:                              ;   in Loop: Header=BB68_3 Depth=1
	s_wait_loadcnt 0x1
	v_add_nc_u64_e32 v[12:13], s[10:11], v[12:13]
	s_wait_loadcnt 0x0
	v_add_nc_u64_e32 v[10:11], v[10:11], v[6:7]
	v_mov_b32_e32 v20, v0
	s_mov_b32 s19, 0
	s_delay_alu instid0(VALU_DEP_3) | instskip(NEXT) | instid1(VALU_DEP_1)
	v_add_nc_u64_e32 v[12:13], v[12:13], v[2:3]
	v_lshl_add_u64 v[12:13], s[20:21], 3, v[12:13]
	s_branch .LBB68_15
.LBB68_14:                              ;   in Loop: Header=BB68_15 Depth=2
	s_wait_xcnt 0x0
	s_or_b32 exec_lo, exec_lo, s30
	v_add_nc_u32_e32 v20, 0x200, v20
	v_add_nc_u64_e32 v[12:13], 0x1000, v[12:13]
	v_add_nc_u64_e32 v[10:11], s[24:25], v[10:11]
	s_delay_alu instid0(VALU_DEP_3) | instskip(SKIP_1) | instid1(SALU_CYCLE_1)
	v_cmp_le_i32_e64 s4, s29, v20
	s_or_b32 s19, s4, s19
	s_and_not1_b32 exec_lo, exec_lo, s19
	s_cbranch_execz .LBB68_20
.LBB68_15:                              ;   Parent Loop BB68_3 Depth=1
                                        ; =>  This Inner Loop Header: Depth=2
	s_mov_b32 s30, exec_lo
	v_cmpx_lt_i32_e64 s18, v20
	s_cbranch_execz .LBB68_14
; %bb.16:                               ;   in Loop: Header=BB68_15 Depth=2
	flat_load_b64 v[22:23], v[12:13]
	flat_load_b64 v[24:25], v[10:11]
	s_wait_loadcnt_dscnt 0x0
	v_fmac_f64_e32 v[8:9], v[22:23], v[24:25]
	s_branch .LBB68_14
.LBB68_17:                              ;   in Loop: Header=BB68_3 Depth=1
	ds_load_b64 v[8:9], v1
	s_or_b32 exec_lo, exec_lo, s4
	s_and_saveexec_b32 s4, s0
	s_cbranch_execz .LBB68_11
.LBB68_18:                              ;   in Loop: Header=BB68_3 Depth=1
	s_wait_dscnt 0x0
	ds_bpermute_b32 v10, v16, v8
	ds_bpermute_b32 v11, v16, v9
	s_wait_dscnt 0x0
	v_add_f64_e32 v[8:9], v[8:9], v[10:11]
	ds_bpermute_b32 v10, v17, v8
	ds_bpermute_b32 v11, v17, v9
	s_wait_dscnt 0x0
	v_add_f64_e32 v[8:9], v[8:9], v[10:11]
	;; [unrolled: 4-line block ×4, first 2 shown]
	s_or_b32 exec_lo, exec_lo, s4
	s_and_saveexec_b32 s4, vcc_lo
	s_cbranch_execz .LBB68_2
.LBB68_19:                              ;   in Loop: Header=BB68_3 Depth=1
	s_mul_u64 s[30:31], s[6:7], s[16:17]
	s_delay_alu instid0(SALU_CYCLE_1) | instskip(NEXT) | instid1(SALU_CYCLE_1)
	s_lshl_b64 s[30:31], s[30:31], 3
	s_add_nc_u64 s[30:31], s[22:23], s[30:31]
	s_wait_dscnt 0x0
	global_store_b64 v3, v[8:9], s[30:31]
	s_branch .LBB68_2
.LBB68_20:                              ;   in Loop: Header=BB68_3 Depth=1
	s_or_b32 exec_lo, exec_lo, s19
	s_delay_alu instid0(SALU_CYCLE_1)
	s_or_b32 exec_lo, exec_lo, s5
	s_and_saveexec_b32 s4, s0
	s_cbranch_execnz .LBB68_6
	s_branch .LBB68_7
.LBB68_21:
	s_endpgm
	.section	.rodata,"a",@progbits
	.p2align	6, 0x0
	.amdhsa_kernel _ZL20rocblas_trmvt_kernelILi512ELb1ELb1ELb1EPKPKdPKPdS4_EviT3_lllT4_lllT5_li
		.amdhsa_group_segment_fixed_size 256
		.amdhsa_private_segment_fixed_size 0
		.amdhsa_kernarg_size 92
		.amdhsa_user_sgpr_count 2
		.amdhsa_user_sgpr_dispatch_ptr 0
		.amdhsa_user_sgpr_queue_ptr 0
		.amdhsa_user_sgpr_kernarg_segment_ptr 1
		.amdhsa_user_sgpr_dispatch_id 0
		.amdhsa_user_sgpr_kernarg_preload_length 0
		.amdhsa_user_sgpr_kernarg_preload_offset 0
		.amdhsa_user_sgpr_private_segment_size 0
		.amdhsa_wavefront_size32 1
		.amdhsa_uses_dynamic_stack 0
		.amdhsa_enable_private_segment 0
		.amdhsa_system_sgpr_workgroup_id_x 1
		.amdhsa_system_sgpr_workgroup_id_y 0
		.amdhsa_system_sgpr_workgroup_id_z 1
		.amdhsa_system_sgpr_workgroup_info 0
		.amdhsa_system_vgpr_workitem_id 0
		.amdhsa_next_free_vgpr 26
		.amdhsa_next_free_sgpr 32
		.amdhsa_named_barrier_count 0
		.amdhsa_reserve_vcc 1
		.amdhsa_float_round_mode_32 0
		.amdhsa_float_round_mode_16_64 0
		.amdhsa_float_denorm_mode_32 3
		.amdhsa_float_denorm_mode_16_64 3
		.amdhsa_fp16_overflow 0
		.amdhsa_memory_ordered 1
		.amdhsa_forward_progress 1
		.amdhsa_inst_pref_size 9
		.amdhsa_round_robin_scheduling 0
		.amdhsa_exception_fp_ieee_invalid_op 0
		.amdhsa_exception_fp_denorm_src 0
		.amdhsa_exception_fp_ieee_div_zero 0
		.amdhsa_exception_fp_ieee_overflow 0
		.amdhsa_exception_fp_ieee_underflow 0
		.amdhsa_exception_fp_ieee_inexact 0
		.amdhsa_exception_int_div_zero 0
	.end_amdhsa_kernel
	.section	.text._ZL20rocblas_trmvt_kernelILi512ELb1ELb1ELb1EPKPKdPKPdS4_EviT3_lllT4_lllT5_li,"axG",@progbits,_ZL20rocblas_trmvt_kernelILi512ELb1ELb1ELb1EPKPKdPKPdS4_EviT3_lllT4_lllT5_li,comdat
.Lfunc_end68:
	.size	_ZL20rocblas_trmvt_kernelILi512ELb1ELb1ELb1EPKPKdPKPdS4_EviT3_lllT4_lllT5_li, .Lfunc_end68-_ZL20rocblas_trmvt_kernelILi512ELb1ELb1ELb1EPKPKdPKPdS4_EviT3_lllT4_lllT5_li
                                        ; -- End function
	.set _ZL20rocblas_trmvt_kernelILi512ELb1ELb1ELb1EPKPKdPKPdS4_EviT3_lllT4_lllT5_li.num_vgpr, 26
	.set _ZL20rocblas_trmvt_kernelILi512ELb1ELb1ELb1EPKPKdPKPdS4_EviT3_lllT4_lllT5_li.num_agpr, 0
	.set _ZL20rocblas_trmvt_kernelILi512ELb1ELb1ELb1EPKPKdPKPdS4_EviT3_lllT4_lllT5_li.numbered_sgpr, 32
	.set _ZL20rocblas_trmvt_kernelILi512ELb1ELb1ELb1EPKPKdPKPdS4_EviT3_lllT4_lllT5_li.num_named_barrier, 0
	.set _ZL20rocblas_trmvt_kernelILi512ELb1ELb1ELb1EPKPKdPKPdS4_EviT3_lllT4_lllT5_li.private_seg_size, 0
	.set _ZL20rocblas_trmvt_kernelILi512ELb1ELb1ELb1EPKPKdPKPdS4_EviT3_lllT4_lllT5_li.uses_vcc, 1
	.set _ZL20rocblas_trmvt_kernelILi512ELb1ELb1ELb1EPKPKdPKPdS4_EviT3_lllT4_lllT5_li.uses_flat_scratch, 0
	.set _ZL20rocblas_trmvt_kernelILi512ELb1ELb1ELb1EPKPKdPKPdS4_EviT3_lllT4_lllT5_li.has_dyn_sized_stack, 0
	.set _ZL20rocblas_trmvt_kernelILi512ELb1ELb1ELb1EPKPKdPKPdS4_EviT3_lllT4_lllT5_li.has_recursion, 0
	.set _ZL20rocblas_trmvt_kernelILi512ELb1ELb1ELb1EPKPKdPKPdS4_EviT3_lllT4_lllT5_li.has_indirect_call, 0
	.section	.AMDGPU.csdata,"",@progbits
; Kernel info:
; codeLenInByte = 1124
; TotalNumSgprs: 34
; NumVgprs: 26
; ScratchSize: 0
; MemoryBound: 1
; FloatMode: 240
; IeeeMode: 1
; LDSByteSize: 256 bytes/workgroup (compile time only)
; SGPRBlocks: 0
; VGPRBlocks: 1
; NumSGPRsForWavesPerEU: 34
; NumVGPRsForWavesPerEU: 26
; NamedBarCnt: 0
; Occupancy: 16
; WaveLimiterHint : 1
; COMPUTE_PGM_RSRC2:SCRATCH_EN: 0
; COMPUTE_PGM_RSRC2:USER_SGPR: 2
; COMPUTE_PGM_RSRC2:TRAP_HANDLER: 0
; COMPUTE_PGM_RSRC2:TGID_X_EN: 1
; COMPUTE_PGM_RSRC2:TGID_Y_EN: 0
; COMPUTE_PGM_RSRC2:TGID_Z_EN: 1
; COMPUTE_PGM_RSRC2:TIDIG_COMP_CNT: 0
	.section	.text._ZL20rocblas_trmvn_kernelILi64ELi16ELb1ELb0EPKPKdPKPdS4_EviT3_lllT4_lllT5_li,"axG",@progbits,_ZL20rocblas_trmvn_kernelILi64ELi16ELb1ELb0EPKPKdPKPdS4_EviT3_lllT4_lllT5_li,comdat
	.globl	_ZL20rocblas_trmvn_kernelILi64ELi16ELb1ELb0EPKPKdPKPdS4_EviT3_lllT4_lllT5_li ; -- Begin function _ZL20rocblas_trmvn_kernelILi64ELi16ELb1ELb0EPKPKdPKPdS4_EviT3_lllT4_lllT5_li
	.p2align	8
	.type	_ZL20rocblas_trmvn_kernelILi64ELi16ELb1ELb0EPKPKdPKPdS4_EviT3_lllT4_lllT5_li,@function
_ZL20rocblas_trmvn_kernelILi64ELi16ELb1ELb0EPKPKdPKPdS4_EviT3_lllT4_lllT5_li: ; @_ZL20rocblas_trmvn_kernelILi64ELi16ELb1ELb0EPKPKdPKPdS4_EviT3_lllT4_lllT5_li
; %bb.0:
	s_load_b32 s3, s[0:1], 0x58
	s_bfe_u32 s2, ttmp6, 0x40014
	s_lshr_b32 s4, ttmp7, 16
	s_add_co_i32 s2, s2, 1
	s_bfe_u32 s6, ttmp6, 0x40008
	s_mul_i32 s5, s4, s2
	s_getreg_b32 s2, hwreg(HW_REG_IB_STS2, 6, 4)
	s_add_co_i32 s6, s6, s5
	s_cmp_eq_u32 s2, 0
	s_mov_b32 s17, 0
	s_cselect_b32 s16, s4, s6
	s_wait_kmcnt 0x0
	s_cmp_ge_u32 s16, s3
	s_cbranch_scc1 .LBB69_14
; %bb.1:
	s_clause 0x2
	s_load_b32 s4, s[0:1], 0x6c
	s_load_b64 s[18:19], s[0:1], 0x18
	s_load_b64 s[22:23], s[0:1], 0x38
	s_bfe_u32 s5, ttmp6, 0x4000c
	s_and_b32 s6, ttmp6, 15
	s_add_co_i32 s5, s5, 1
	v_and_b32_e32 v10, 0x3ff, v0
	s_mul_i32 s5, ttmp9, s5
	v_bfe_u32 v2, v0, 10, 10
	s_add_co_i32 s8, s6, s5
	s_load_b128 s[12:15], s[0:1], 0x8
	v_lshlrev_b32_e32 v16, 3, v10
	s_delay_alu instid0(VALU_DEP_2)
	v_lshlrev_b32_e32 v17, 9, v2
	s_wait_kmcnt 0x0
	s_and_b32 s21, s4, 0xffff
	s_cmp_eq_u32 s2, 0
	s_load_b128 s[4:7], s[0:1], 0x28
	s_cselect_b32 s2, ttmp9, s8
	s_clause 0x1
	s_load_b32 s20, s[0:1], 0x0
	s_load_b128 s[8:11], s[0:1], 0x48
	v_lshl_add_u32 v0, s2, 6, v10
	v_mov_b32_e32 v3, 0
	v_mad_u32_u24 v19, v2, s21, v10
	v_mul_u32_u24_e32 v18, s21, v2
	v_cmp_eq_u32_e64 s2, 0, v2
	v_ashrrev_i32_e32 v1, 31, v0
	v_mul_u64_e32 v[8:9], s[18:19], v[2:3]
	v_mul_u64_e32 v[12:13], s[22:23], v[2:3]
	s_wait_xcnt 0x0
	v_cmp_gt_u32_e64 s1, 64, v19
	s_lshl_b64 s[14:15], s[14:15], 3
	v_mad_nc_u64_u32 v[4:5], v0, s18, v[0:1]
	v_mul_u64_e32 v[6:7], s[22:23], v[0:1]
	v_lshlrev_b64_e32 v[10:11], 3, v[0:1]
	s_wait_kmcnt 0x0
	s_lshl_b64 s[6:7], s[6:7], 3
	v_cmp_gt_i32_e64 s0, s20, v0
	v_cmp_gt_i32_e32 vcc_lo, s20, v2
	v_mad_u32 v3, v1, s18, v5
	v_lshl_add_u32 v1, v18, 3, v16
	s_and_b32 s21, s2, s0
	s_delay_alu instid0(VALU_DEP_2)
	v_mad_u32 v5, v0, s19, v3
	v_add_nc_u32_e32 v3, v16, v17
	s_lshl_b64 s[18:19], s[18:19], 7
	v_lshl_add_u64 v[14:15], v[8:9], 3, s[14:15]
	v_add_nc_u64_e32 v[8:9], s[8:9], v[10:11]
	v_lshl_add_u64 v[12:13], v[12:13], 3, s[6:7]
	s_lshl_b64 s[8:9], s[22:23], 7
	s_delay_alu instid0(VALU_DEP_3)
	v_add_nc_u64_e32 v[10:11], v[14:15], v[10:11]
	s_branch .LBB69_3
.LBB69_2:                               ;   in Loop: Header=BB69_3 Depth=1
	s_wait_xcnt 0x0
	s_or_b32 exec_lo, exec_lo, s2
	s_add_co_i32 s16, s16, 0x10000
	s_delay_alu instid0(SALU_CYCLE_1)
	s_cmp_lt_u32 s16, s3
	s_cbranch_scc0 .LBB69_14
.LBB69_3:                               ; =>This Loop Header: Depth=1
                                        ;     Child Loop BB69_8 Depth 2
	v_mov_b32_e32 v14, s16
	s_clause 0x1
	global_load_b64 v[18:19], v14, s[12:13] scale_offset
	global_load_b64 v[16:17], v14, s[4:5] scale_offset
	s_wait_xcnt 0x0
	v_mov_b64_e32 v[14:15], 0
	s_and_saveexec_b32 s2, s21
	s_cbranch_execz .LBB69_5
; %bb.4:                                ;   in Loop: Header=BB69_3 Depth=1
	s_wait_loadcnt 0x1
	v_add_nc_u64_e32 v[14:15], s[14:15], v[18:19]
	s_wait_loadcnt 0x0
	v_add_nc_u64_e32 v[20:21], s[6:7], v[16:17]
	s_delay_alu instid0(VALU_DEP_2) | instskip(NEXT) | instid1(VALU_DEP_2)
	v_lshl_add_u64 v[14:15], v[4:5], 3, v[14:15]
	v_lshl_add_u64 v[20:21], v[6:7], 3, v[20:21]
	flat_load_b64 v[22:23], v[14:15]
	flat_load_b64 v[24:25], v[20:21]
	s_wait_loadcnt_dscnt 0x0
	s_wait_xcnt 0x1
	v_mul_f64_e32 v[14:15], v[22:23], v[24:25]
.LBB69_5:                               ;   in Loop: Header=BB69_3 Depth=1
	s_wait_xcnt 0x0
	s_or_b32 exec_lo, exec_lo, s2
	s_and_saveexec_b32 s22, vcc_lo
	s_cbranch_execz .LBB69_11
; %bb.6:                                ;   in Loop: Header=BB69_3 Depth=1
	s_wait_loadcnt 0x0
	v_add_nc_u64_e32 v[16:17], v[16:17], v[12:13]
	v_add_nc_u64_e32 v[18:19], v[18:19], v[10:11]
	v_mov_b32_e32 v20, v2
	s_mov_b32 s23, 0
	s_branch .LBB69_8
.LBB69_7:                               ;   in Loop: Header=BB69_8 Depth=2
	s_wait_xcnt 0x0
	s_or_b32 exec_lo, exec_lo, s2
	v_add_nc_u32_e32 v20, 16, v20
	v_add_nc_u64_e32 v[16:17], s[8:9], v[16:17]
	v_add_nc_u64_e32 v[18:19], s[18:19], v[18:19]
	s_delay_alu instid0(VALU_DEP_3) | instskip(SKIP_1) | instid1(SALU_CYCLE_1)
	v_cmp_le_i32_e64 s2, s20, v20
	s_or_b32 s23, s2, s23
	s_and_not1_b32 exec_lo, exec_lo, s23
	s_cbranch_execz .LBB69_10
.LBB69_8:                               ;   Parent Loop BB69_3 Depth=1
                                        ; =>  This Inner Loop Header: Depth=2
	s_delay_alu instid0(VALU_DEP_1) | instskip(SKIP_1) | instid1(SALU_CYCLE_1)
	v_cmp_lt_i32_e64 s2, v20, v0
	s_and_b32 s24, s0, s2
	s_and_saveexec_b32 s2, s24
	s_cbranch_execz .LBB69_7
; %bb.9:                                ;   in Loop: Header=BB69_8 Depth=2
	flat_load_b64 v[22:23], v[18:19]
	flat_load_b64 v[24:25], v[16:17]
	s_wait_loadcnt_dscnt 0x0
	v_fmac_f64_e32 v[14:15], v[22:23], v[24:25]
	s_branch .LBB69_7
.LBB69_10:                              ;   in Loop: Header=BB69_3 Depth=1
	s_or_b32 exec_lo, exec_lo, s23
.LBB69_11:                              ;   in Loop: Header=BB69_3 Depth=1
	s_delay_alu instid0(SALU_CYCLE_1)
	s_or_b32 exec_lo, exec_lo, s22
	ds_store_b64 v3, v[14:15]
	s_wait_loadcnt_dscnt 0x0
	s_barrier_signal -1
	s_barrier_wait -1
	s_and_saveexec_b32 s2, s1
	s_cbranch_execz .LBB69_2
; %bb.12:                               ;   in Loop: Header=BB69_3 Depth=1
	ds_load_2addr_stride64_b64 v[14:17], v1 offset1:1
	ds_load_2addr_stride64_b64 v[18:21], v1 offset0:2 offset1:3
	s_wait_dscnt 0x1
	v_add_f64_e32 v[14:15], v[14:15], v[16:17]
	s_wait_dscnt 0x0
	s_delay_alu instid0(VALU_DEP_1) | instskip(NEXT) | instid1(VALU_DEP_1)
	v_add_f64_e32 v[14:15], v[18:19], v[14:15]
	v_add_f64_e32 v[22:23], v[20:21], v[14:15]
	ds_load_2addr_stride64_b64 v[14:17], v1 offset0:4 offset1:5
	ds_load_2addr_stride64_b64 v[18:21], v1 offset0:6 offset1:7
	s_wait_dscnt 0x1
	v_add_f64_e32 v[14:15], v[14:15], v[22:23]
	s_delay_alu instid0(VALU_DEP_1) | instskip(SKIP_1) | instid1(VALU_DEP_1)
	v_add_f64_e32 v[14:15], v[16:17], v[14:15]
	s_wait_dscnt 0x0
	v_add_f64_e32 v[14:15], v[18:19], v[14:15]
	s_delay_alu instid0(VALU_DEP_1) | instskip(SKIP_4) | instid1(VALU_DEP_1)
	v_add_f64_e32 v[22:23], v[20:21], v[14:15]
	ds_load_2addr_stride64_b64 v[14:17], v1 offset0:8 offset1:9
	ds_load_2addr_stride64_b64 v[18:21], v1 offset0:10 offset1:11
	s_wait_dscnt 0x1
	v_add_f64_e32 v[14:15], v[14:15], v[22:23]
	v_add_f64_e32 v[14:15], v[16:17], v[14:15]
	s_wait_dscnt 0x0
	s_delay_alu instid0(VALU_DEP_1) | instskip(NEXT) | instid1(VALU_DEP_1)
	v_add_f64_e32 v[14:15], v[18:19], v[14:15]
	v_add_f64_e32 v[22:23], v[20:21], v[14:15]
	ds_load_2addr_stride64_b64 v[14:17], v1 offset0:12 offset1:13
	ds_load_2addr_stride64_b64 v[18:21], v1 offset0:14 offset1:15
	s_wait_dscnt 0x1
	v_add_f64_e32 v[14:15], v[14:15], v[22:23]
	s_delay_alu instid0(VALU_DEP_1) | instskip(SKIP_1) | instid1(VALU_DEP_1)
	v_add_f64_e32 v[14:15], v[16:17], v[14:15]
	s_wait_dscnt 0x0
	v_add_f64_e32 v[14:15], v[18:19], v[14:15]
	s_delay_alu instid0(VALU_DEP_1)
	v_add_f64_e32 v[14:15], v[20:21], v[14:15]
	ds_store_b64 v1, v[14:15]
	s_and_b32 exec_lo, exec_lo, s0
	s_cbranch_execz .LBB69_2
; %bb.13:                               ;   in Loop: Header=BB69_3 Depth=1
	s_mul_u64 s[22:23], s[10:11], s[16:17]
	s_delay_alu instid0(SALU_CYCLE_1)
	v_lshl_add_u64 v[16:17], s[22:23], 3, v[8:9]
	global_store_b64 v[16:17], v[14:15], off
	s_branch .LBB69_2
.LBB69_14:
	s_endpgm
	.section	.rodata,"a",@progbits
	.p2align	6, 0x0
	.amdhsa_kernel _ZL20rocblas_trmvn_kernelILi64ELi16ELb1ELb0EPKPKdPKPdS4_EviT3_lllT4_lllT5_li
		.amdhsa_group_segment_fixed_size 8192
		.amdhsa_private_segment_fixed_size 0
		.amdhsa_kernarg_size 352
		.amdhsa_user_sgpr_count 2
		.amdhsa_user_sgpr_dispatch_ptr 0
		.amdhsa_user_sgpr_queue_ptr 0
		.amdhsa_user_sgpr_kernarg_segment_ptr 1
		.amdhsa_user_sgpr_dispatch_id 0
		.amdhsa_user_sgpr_kernarg_preload_length 0
		.amdhsa_user_sgpr_kernarg_preload_offset 0
		.amdhsa_user_sgpr_private_segment_size 0
		.amdhsa_wavefront_size32 1
		.amdhsa_uses_dynamic_stack 0
		.amdhsa_enable_private_segment 0
		.amdhsa_system_sgpr_workgroup_id_x 1
		.amdhsa_system_sgpr_workgroup_id_y 0
		.amdhsa_system_sgpr_workgroup_id_z 1
		.amdhsa_system_sgpr_workgroup_info 0
		.amdhsa_system_vgpr_workitem_id 1
		.amdhsa_next_free_vgpr 26
		.amdhsa_next_free_sgpr 25
		.amdhsa_named_barrier_count 0
		.amdhsa_reserve_vcc 1
		.amdhsa_float_round_mode_32 0
		.amdhsa_float_round_mode_16_64 0
		.amdhsa_float_denorm_mode_32 3
		.amdhsa_float_denorm_mode_16_64 3
		.amdhsa_fp16_overflow 0
		.amdhsa_memory_ordered 1
		.amdhsa_forward_progress 1
		.amdhsa_inst_pref_size 8
		.amdhsa_round_robin_scheduling 0
		.amdhsa_exception_fp_ieee_invalid_op 0
		.amdhsa_exception_fp_denorm_src 0
		.amdhsa_exception_fp_ieee_div_zero 0
		.amdhsa_exception_fp_ieee_overflow 0
		.amdhsa_exception_fp_ieee_underflow 0
		.amdhsa_exception_fp_ieee_inexact 0
		.amdhsa_exception_int_div_zero 0
	.end_amdhsa_kernel
	.section	.text._ZL20rocblas_trmvn_kernelILi64ELi16ELb1ELb0EPKPKdPKPdS4_EviT3_lllT4_lllT5_li,"axG",@progbits,_ZL20rocblas_trmvn_kernelILi64ELi16ELb1ELb0EPKPKdPKPdS4_EviT3_lllT4_lllT5_li,comdat
.Lfunc_end69:
	.size	_ZL20rocblas_trmvn_kernelILi64ELi16ELb1ELb0EPKPKdPKPdS4_EviT3_lllT4_lllT5_li, .Lfunc_end69-_ZL20rocblas_trmvn_kernelILi64ELi16ELb1ELb0EPKPKdPKPdS4_EviT3_lllT4_lllT5_li
                                        ; -- End function
	.set _ZL20rocblas_trmvn_kernelILi64ELi16ELb1ELb0EPKPKdPKPdS4_EviT3_lllT4_lllT5_li.num_vgpr, 26
	.set _ZL20rocblas_trmvn_kernelILi64ELi16ELb1ELb0EPKPKdPKPdS4_EviT3_lllT4_lllT5_li.num_agpr, 0
	.set _ZL20rocblas_trmvn_kernelILi64ELi16ELb1ELb0EPKPKdPKPdS4_EviT3_lllT4_lllT5_li.numbered_sgpr, 25
	.set _ZL20rocblas_trmvn_kernelILi64ELi16ELb1ELb0EPKPKdPKPdS4_EviT3_lllT4_lllT5_li.num_named_barrier, 0
	.set _ZL20rocblas_trmvn_kernelILi64ELi16ELb1ELb0EPKPKdPKPdS4_EviT3_lllT4_lllT5_li.private_seg_size, 0
	.set _ZL20rocblas_trmvn_kernelILi64ELi16ELb1ELb0EPKPKdPKPdS4_EviT3_lllT4_lllT5_li.uses_vcc, 1
	.set _ZL20rocblas_trmvn_kernelILi64ELi16ELb1ELb0EPKPKdPKPdS4_EviT3_lllT4_lllT5_li.uses_flat_scratch, 0
	.set _ZL20rocblas_trmvn_kernelILi64ELi16ELb1ELb0EPKPKdPKPdS4_EviT3_lllT4_lllT5_li.has_dyn_sized_stack, 0
	.set _ZL20rocblas_trmvn_kernelILi64ELi16ELb1ELb0EPKPKdPKPdS4_EviT3_lllT4_lllT5_li.has_recursion, 0
	.set _ZL20rocblas_trmvn_kernelILi64ELi16ELb1ELb0EPKPKdPKPdS4_EviT3_lllT4_lllT5_li.has_indirect_call, 0
	.section	.AMDGPU.csdata,"",@progbits
; Kernel info:
; codeLenInByte = 940
; TotalNumSgprs: 27
; NumVgprs: 26
; ScratchSize: 0
; MemoryBound: 1
; FloatMode: 240
; IeeeMode: 1
; LDSByteSize: 8192 bytes/workgroup (compile time only)
; SGPRBlocks: 0
; VGPRBlocks: 1
; NumSGPRsForWavesPerEU: 27
; NumVGPRsForWavesPerEU: 26
; NamedBarCnt: 0
; Occupancy: 16
; WaveLimiterHint : 1
; COMPUTE_PGM_RSRC2:SCRATCH_EN: 0
; COMPUTE_PGM_RSRC2:USER_SGPR: 2
; COMPUTE_PGM_RSRC2:TRAP_HANDLER: 0
; COMPUTE_PGM_RSRC2:TGID_X_EN: 1
; COMPUTE_PGM_RSRC2:TGID_Y_EN: 0
; COMPUTE_PGM_RSRC2:TGID_Z_EN: 1
; COMPUTE_PGM_RSRC2:TIDIG_COMP_CNT: 1
	.section	.text._ZL20rocblas_trmvt_kernelILi512ELb1ELb0ELb0EPKPKdPKPdS4_EviT3_lllT4_lllT5_li,"axG",@progbits,_ZL20rocblas_trmvt_kernelILi512ELb1ELb0ELb0EPKPKdPKPdS4_EviT3_lllT4_lllT5_li,comdat
	.globl	_ZL20rocblas_trmvt_kernelILi512ELb1ELb0ELb0EPKPKdPKPdS4_EviT3_lllT4_lllT5_li ; -- Begin function _ZL20rocblas_trmvt_kernelILi512ELb1ELb0ELb0EPKPKdPKPdS4_EviT3_lllT4_lllT5_li
	.p2align	8
	.type	_ZL20rocblas_trmvt_kernelILi512ELb1ELb0ELb0EPKPKdPKPdS4_EviT3_lllT4_lllT5_li,@function
_ZL20rocblas_trmvt_kernelILi512ELb1ELb0ELb0EPKPKdPKPdS4_EviT3_lllT4_lllT5_li: ; @_ZL20rocblas_trmvt_kernelILi512ELb1ELb0ELb0EPKPKdPKPdS4_EviT3_lllT4_lllT5_li
; %bb.0:
	s_load_b32 s28, s[0:1], 0x58
	s_bfe_u32 s2, ttmp6, 0x40014
	s_lshr_b32 s4, ttmp7, 16
	s_add_co_i32 s2, s2, 1
	s_bfe_u32 s5, ttmp6, 0x40008
	s_mul_i32 s2, s4, s2
	s_getreg_b32 s3, hwreg(HW_REG_IB_STS2, 6, 4)
	s_add_co_i32 s5, s5, s2
	s_cmp_eq_u32 s3, 0
	s_mov_b32 s17, 0
	s_cselect_b32 s16, s4, s5
	s_wait_kmcnt 0x0
	s_cmp_ge_u32 s16, s28
	s_cbranch_scc1 .LBB70_21
; %bb.1:
	s_clause 0x5
	s_load_b64 s[24:25], s[0:1], 0x38
	s_load_b32 s29, s[0:1], 0x0
	s_load_b128 s[8:11], s[0:1], 0x8
	s_load_b64 s[20:21], s[0:1], 0x18
	s_load_b128 s[12:15], s[0:1], 0x28
	s_load_b128 s[4:7], s[0:1], 0x48
	v_dual_mov_b32 v3, 0 :: v_dual_bitop2_b32 v2, 31, v0 bitop3:0x40
	v_mbcnt_lo_u32_b32 v8, -1, 0
	s_bfe_u32 s2, ttmp6, 0x4000c
	s_delay_alu instid0(VALU_DEP_2)
	v_dual_lshrrev_b32 v9, 2, v0 :: v_dual_mov_b32 v1, v3
	s_add_co_i32 s2, s2, 1
	s_and_b32 s18, ttmp6, 15
	s_mul_i32 s19, ttmp9, s2
	v_cmp_gt_u32_e64 s2, 24, v8
	s_add_co_i32 s18, s18, s19
	s_cmp_eq_u32 s3, 0
	v_mov_b64_e32 v[4:5], 0
	s_cselect_b32 s18, ttmp9, s18
	s_wait_kmcnt 0x0
	v_mul_u64_e32 v[6:7], s[24:25], v[0:1]
	v_cndmask_b32_e64 v10, 0, 8, s2
	v_cmp_gt_u32_e64 s2, 28, v8
	v_cmp_gt_i32_e64 s3, s29, v0
	s_lshl_b64 s[14:15], s[14:15], 3
	s_ashr_i32 s19, s18, 31
	v_cmp_gt_u32_e64 s0, 32, v0
	v_cndmask_b32_e64 v11, 0, 4, s2
	v_cmp_gt_u32_e64 s2, 30, v8
	v_cmp_gt_u32_e64 s1, 16, v0
	v_lshl_or_b32 v14, v8, 2, 64
	v_and_b32_e32 v15, 0x78, v9
	v_add_lshl_u32 v16, v10, v8, 2
	v_cndmask_b32_e64 v12, 0, 2, s2
	v_cmp_ne_u32_e64 s2, 31, v8
	v_add_lshl_u32 v17, v11, v8, 2
	s_lshl_b64 s[22:23], s[18:19], 3
	s_mul_u64 s[26:27], s[24:25], s[18:19]
	v_add_lshl_u32 v18, v12, v8, 2
	v_add_co_ci_u32_e64 v13, null, 0, v8, s2
	v_lshlrev_b32_e32 v1, 3, v2
	v_cmp_eq_u32_e64 s2, 0, v2
	s_delay_alu instid0(VALU_DEP_3) | instskip(SKIP_3) | instid1(VALU_DEP_1)
	v_dual_cndmask_b32 v2, 0, v0, s3 :: v_dual_lshlrev_b32 v19, 2, v13
	s_mul_u64 s[20:21], s[20:21], s[18:19]
	s_add_nc_u64 s[22:23], s[4:5], s[22:23]
	s_lshl_b64 s[24:25], s[24:25], 12
	v_lshlrev_b32_e32 v2, 3, v2
	s_lshl_b64 s[10:11], s[10:11], 3
	s_lshl_b64 s[26:27], s[26:27], 3
	v_cmp_eq_u32_e32 vcc_lo, 0, v0
	v_lshl_add_u64 v[6:7], v[6:7], 3, s[14:15]
	s_branch .LBB70_3
.LBB70_2:                               ;   in Loop: Header=BB70_3 Depth=1
	s_wait_xcnt 0x0
	s_or_b32 exec_lo, exec_lo, s4
	s_add_co_i32 s16, s16, 0x10000
	s_delay_alu instid0(SALU_CYCLE_1)
	s_cmp_lt_u32 s16, s28
	s_cbranch_scc0 .LBB70_21
.LBB70_3:                               ; =>This Loop Header: Depth=1
                                        ;     Child Loop BB70_15 Depth 2
	v_mov_b32_e32 v10, s16
	s_wait_dscnt 0x0
	s_clause 0x1
	global_load_b64 v[8:9], v10, s[8:9] scale_offset
	global_load_b64 v[12:13], v10, s[12:13] scale_offset
	s_wait_loadcnt 0x1
	v_add_nc_u64_e32 v[8:9], s[10:11], v[8:9]
	s_wait_xcnt 0x0
	s_delay_alu instid0(VALU_DEP_1) | instskip(SKIP_1) | instid1(VALU_DEP_2)
	v_add_nc_u64_e32 v[10:11], v[8:9], v[2:3]
	v_mov_b64_e32 v[8:9], 0
	v_lshl_add_u64 v[10:11], s[20:21], 3, v[10:11]
	s_and_saveexec_b32 s4, vcc_lo
	s_cbranch_execnz .LBB70_12
; %bb.4:                                ;   in Loop: Header=BB70_3 Depth=1
	s_or_b32 exec_lo, exec_lo, s4
	s_and_saveexec_b32 s5, s3
	s_cbranch_execnz .LBB70_13
.LBB70_5:                               ;   in Loop: Header=BB70_3 Depth=1
	s_or_b32 exec_lo, exec_lo, s5
	s_and_saveexec_b32 s4, s0
.LBB70_6:                               ;   in Loop: Header=BB70_3 Depth=1
	ds_store_b64 v1, v[4:5]
.LBB70_7:                               ;   in Loop: Header=BB70_3 Depth=1
	s_or_b32 exec_lo, exec_lo, s4
	ds_bpermute_b32 v10, v14, v8
	ds_bpermute_b32 v11, v14, v9
	s_wait_loadcnt_dscnt 0x0
	s_barrier_signal -1
	s_barrier_wait -1
	v_add_f64_e32 v[8:9], v[8:9], v[10:11]
	ds_bpermute_b32 v10, v16, v8
	ds_bpermute_b32 v11, v16, v9
	s_wait_dscnt 0x0
	v_add_f64_e32 v[8:9], v[8:9], v[10:11]
	ds_bpermute_b32 v10, v17, v8
	ds_bpermute_b32 v11, v17, v9
	s_wait_dscnt 0x0
	;; [unrolled: 4-line block ×3, first 2 shown]
	v_add_f64_e32 v[8:9], v[8:9], v[10:11]
	ds_bpermute_b32 v10, v19, v8
	ds_bpermute_b32 v11, v19, v9
	s_and_saveexec_b32 s4, s2
	s_cbranch_execz .LBB70_9
; %bb.8:                                ;   in Loop: Header=BB70_3 Depth=1
	s_wait_dscnt 0x0
	v_add_f64_e32 v[8:9], v[8:9], v[10:11]
	ds_store_b64 v15, v[8:9]
.LBB70_9:                               ;   in Loop: Header=BB70_3 Depth=1
	s_or_b32 exec_lo, exec_lo, s4
	v_mov_b64_e32 v[8:9], 0
	s_wait_dscnt 0x0
	s_barrier_signal -1
	s_barrier_wait -1
	s_and_saveexec_b32 s4, s1
	s_cbranch_execnz .LBB70_17
; %bb.10:                               ;   in Loop: Header=BB70_3 Depth=1
	s_or_b32 exec_lo, exec_lo, s4
	s_and_saveexec_b32 s4, s0
	s_cbranch_execnz .LBB70_18
.LBB70_11:                              ;   in Loop: Header=BB70_3 Depth=1
	s_or_b32 exec_lo, exec_lo, s4
	s_and_saveexec_b32 s4, vcc_lo
	s_cbranch_execz .LBB70_2
	s_branch .LBB70_19
.LBB70_12:                              ;   in Loop: Header=BB70_3 Depth=1
	s_wait_loadcnt 0x0
	v_add_nc_u64_e32 v[8:9], s[14:15], v[12:13]
	v_lshl_add_u64 v[20:21], s[18:19], 3, v[10:11]
	s_delay_alu instid0(VALU_DEP_2)
	v_add_nc_u64_e32 v[8:9], s[26:27], v[8:9]
	flat_load_b64 v[22:23], v[20:21]
	flat_load_b64 v[24:25], v[8:9]
	s_wait_loadcnt_dscnt 0x0
	s_wait_xcnt 0x0
	v_fma_f64 v[8:9], v[22:23], v[24:25], 0
	s_or_b32 exec_lo, exec_lo, s4
	s_and_saveexec_b32 s5, s3
	s_cbranch_execz .LBB70_5
.LBB70_13:                              ;   in Loop: Header=BB70_3 Depth=1
	s_wait_loadcnt 0x0
	v_add_nc_u64_e32 v[12:13], v[12:13], v[6:7]
	v_mov_b32_e32 v20, v0
	s_mov_b32 s30, 0
	s_branch .LBB70_15
.LBB70_14:                              ;   in Loop: Header=BB70_15 Depth=2
	s_wait_xcnt 0x0
	s_or_b32 exec_lo, exec_lo, s31
	v_add_nc_u32_e32 v20, 0x200, v20
	v_add_nc_u64_e32 v[10:11], 0x1000, v[10:11]
	v_add_nc_u64_e32 v[12:13], s[24:25], v[12:13]
	s_delay_alu instid0(VALU_DEP_3) | instskip(SKIP_1) | instid1(SALU_CYCLE_1)
	v_cmp_le_i32_e64 s4, s29, v20
	s_or_b32 s30, s4, s30
	s_and_not1_b32 exec_lo, exec_lo, s30
	s_cbranch_execz .LBB70_20
.LBB70_15:                              ;   Parent Loop BB70_3 Depth=1
                                        ; =>  This Inner Loop Header: Depth=2
	s_mov_b32 s31, exec_lo
	s_delay_alu instid0(VALU_DEP_1)
	v_cmpx_lt_i32_e64 s18, v20
	s_cbranch_execz .LBB70_14
; %bb.16:                               ;   in Loop: Header=BB70_15 Depth=2
	flat_load_b64 v[22:23], v[10:11]
	flat_load_b64 v[24:25], v[12:13]
	s_wait_loadcnt_dscnt 0x0
	v_fmac_f64_e32 v[8:9], v[22:23], v[24:25]
	s_branch .LBB70_14
.LBB70_17:                              ;   in Loop: Header=BB70_3 Depth=1
	ds_load_b64 v[8:9], v1
	s_or_b32 exec_lo, exec_lo, s4
	s_and_saveexec_b32 s4, s0
	s_cbranch_execz .LBB70_11
.LBB70_18:                              ;   in Loop: Header=BB70_3 Depth=1
	s_wait_dscnt 0x0
	ds_bpermute_b32 v10, v16, v8
	ds_bpermute_b32 v11, v16, v9
	s_wait_dscnt 0x0
	v_add_f64_e32 v[8:9], v[8:9], v[10:11]
	ds_bpermute_b32 v10, v17, v8
	ds_bpermute_b32 v11, v17, v9
	s_wait_dscnt 0x0
	v_add_f64_e32 v[8:9], v[8:9], v[10:11]
	;; [unrolled: 4-line block ×4, first 2 shown]
	s_or_b32 exec_lo, exec_lo, s4
	s_and_saveexec_b32 s4, vcc_lo
	s_cbranch_execz .LBB70_2
.LBB70_19:                              ;   in Loop: Header=BB70_3 Depth=1
	s_mul_u64 s[30:31], s[6:7], s[16:17]
	s_delay_alu instid0(SALU_CYCLE_1) | instskip(NEXT) | instid1(SALU_CYCLE_1)
	s_lshl_b64 s[30:31], s[30:31], 3
	s_add_nc_u64 s[30:31], s[22:23], s[30:31]
	s_wait_dscnt 0x0
	global_store_b64 v3, v[8:9], s[30:31]
	s_branch .LBB70_2
.LBB70_20:                              ;   in Loop: Header=BB70_3 Depth=1
	s_or_b32 exec_lo, exec_lo, s30
	s_delay_alu instid0(SALU_CYCLE_1)
	s_or_b32 exec_lo, exec_lo, s5
	s_and_saveexec_b32 s4, s0
	s_cbranch_execnz .LBB70_6
	s_branch .LBB70_7
.LBB70_21:
	s_endpgm
	.section	.rodata,"a",@progbits
	.p2align	6, 0x0
	.amdhsa_kernel _ZL20rocblas_trmvt_kernelILi512ELb1ELb0ELb0EPKPKdPKPdS4_EviT3_lllT4_lllT5_li
		.amdhsa_group_segment_fixed_size 256
		.amdhsa_private_segment_fixed_size 0
		.amdhsa_kernarg_size 92
		.amdhsa_user_sgpr_count 2
		.amdhsa_user_sgpr_dispatch_ptr 0
		.amdhsa_user_sgpr_queue_ptr 0
		.amdhsa_user_sgpr_kernarg_segment_ptr 1
		.amdhsa_user_sgpr_dispatch_id 0
		.amdhsa_user_sgpr_kernarg_preload_length 0
		.amdhsa_user_sgpr_kernarg_preload_offset 0
		.amdhsa_user_sgpr_private_segment_size 0
		.amdhsa_wavefront_size32 1
		.amdhsa_uses_dynamic_stack 0
		.amdhsa_enable_private_segment 0
		.amdhsa_system_sgpr_workgroup_id_x 1
		.amdhsa_system_sgpr_workgroup_id_y 0
		.amdhsa_system_sgpr_workgroup_id_z 1
		.amdhsa_system_sgpr_workgroup_info 0
		.amdhsa_system_vgpr_workitem_id 0
		.amdhsa_next_free_vgpr 26
		.amdhsa_next_free_sgpr 32
		.amdhsa_named_barrier_count 0
		.amdhsa_reserve_vcc 1
		.amdhsa_float_round_mode_32 0
		.amdhsa_float_round_mode_16_64 0
		.amdhsa_float_denorm_mode_32 3
		.amdhsa_float_denorm_mode_16_64 3
		.amdhsa_fp16_overflow 0
		.amdhsa_memory_ordered 1
		.amdhsa_forward_progress 1
		.amdhsa_inst_pref_size 9
		.amdhsa_round_robin_scheduling 0
		.amdhsa_exception_fp_ieee_invalid_op 0
		.amdhsa_exception_fp_denorm_src 0
		.amdhsa_exception_fp_ieee_div_zero 0
		.amdhsa_exception_fp_ieee_overflow 0
		.amdhsa_exception_fp_ieee_underflow 0
		.amdhsa_exception_fp_ieee_inexact 0
		.amdhsa_exception_int_div_zero 0
	.end_amdhsa_kernel
	.section	.text._ZL20rocblas_trmvt_kernelILi512ELb1ELb0ELb0EPKPKdPKPdS4_EviT3_lllT4_lllT5_li,"axG",@progbits,_ZL20rocblas_trmvt_kernelILi512ELb1ELb0ELb0EPKPKdPKPdS4_EviT3_lllT4_lllT5_li,comdat
.Lfunc_end70:
	.size	_ZL20rocblas_trmvt_kernelILi512ELb1ELb0ELb0EPKPKdPKPdS4_EviT3_lllT4_lllT5_li, .Lfunc_end70-_ZL20rocblas_trmvt_kernelILi512ELb1ELb0ELb0EPKPKdPKPdS4_EviT3_lllT4_lllT5_li
                                        ; -- End function
	.set _ZL20rocblas_trmvt_kernelILi512ELb1ELb0ELb0EPKPKdPKPdS4_EviT3_lllT4_lllT5_li.num_vgpr, 26
	.set _ZL20rocblas_trmvt_kernelILi512ELb1ELb0ELb0EPKPKdPKPdS4_EviT3_lllT4_lllT5_li.num_agpr, 0
	.set _ZL20rocblas_trmvt_kernelILi512ELb1ELb0ELb0EPKPKdPKPdS4_EviT3_lllT4_lllT5_li.numbered_sgpr, 32
	.set _ZL20rocblas_trmvt_kernelILi512ELb1ELb0ELb0EPKPKdPKPdS4_EviT3_lllT4_lllT5_li.num_named_barrier, 0
	.set _ZL20rocblas_trmvt_kernelILi512ELb1ELb0ELb0EPKPKdPKPdS4_EviT3_lllT4_lllT5_li.private_seg_size, 0
	.set _ZL20rocblas_trmvt_kernelILi512ELb1ELb0ELb0EPKPKdPKPdS4_EviT3_lllT4_lllT5_li.uses_vcc, 1
	.set _ZL20rocblas_trmvt_kernelILi512ELb1ELb0ELb0EPKPKdPKPdS4_EviT3_lllT4_lllT5_li.uses_flat_scratch, 0
	.set _ZL20rocblas_trmvt_kernelILi512ELb1ELb0ELb0EPKPKdPKPdS4_EviT3_lllT4_lllT5_li.has_dyn_sized_stack, 0
	.set _ZL20rocblas_trmvt_kernelILi512ELb1ELb0ELb0EPKPKdPKPdS4_EviT3_lllT4_lllT5_li.has_recursion, 0
	.set _ZL20rocblas_trmvt_kernelILi512ELb1ELb0ELb0EPKPKdPKPdS4_EviT3_lllT4_lllT5_li.has_indirect_call, 0
	.section	.AMDGPU.csdata,"",@progbits
; Kernel info:
; codeLenInByte = 1148
; TotalNumSgprs: 34
; NumVgprs: 26
; ScratchSize: 0
; MemoryBound: 1
; FloatMode: 240
; IeeeMode: 1
; LDSByteSize: 256 bytes/workgroup (compile time only)
; SGPRBlocks: 0
; VGPRBlocks: 1
; NumSGPRsForWavesPerEU: 34
; NumVGPRsForWavesPerEU: 26
; NamedBarCnt: 0
; Occupancy: 16
; WaveLimiterHint : 1
; COMPUTE_PGM_RSRC2:SCRATCH_EN: 0
; COMPUTE_PGM_RSRC2:USER_SGPR: 2
; COMPUTE_PGM_RSRC2:TRAP_HANDLER: 0
; COMPUTE_PGM_RSRC2:TGID_X_EN: 1
; COMPUTE_PGM_RSRC2:TGID_Y_EN: 0
; COMPUTE_PGM_RSRC2:TGID_Z_EN: 1
; COMPUTE_PGM_RSRC2:TIDIG_COMP_CNT: 0
	.section	.text._ZL20rocblas_trmvt_kernelILi512ELb1ELb1ELb0EPKPKdPKPdS4_EviT3_lllT4_lllT5_li,"axG",@progbits,_ZL20rocblas_trmvt_kernelILi512ELb1ELb1ELb0EPKPKdPKPdS4_EviT3_lllT4_lllT5_li,comdat
	.globl	_ZL20rocblas_trmvt_kernelILi512ELb1ELb1ELb0EPKPKdPKPdS4_EviT3_lllT4_lllT5_li ; -- Begin function _ZL20rocblas_trmvt_kernelILi512ELb1ELb1ELb0EPKPKdPKPdS4_EviT3_lllT4_lllT5_li
	.p2align	8
	.type	_ZL20rocblas_trmvt_kernelILi512ELb1ELb1ELb0EPKPKdPKPdS4_EviT3_lllT4_lllT5_li,@function
_ZL20rocblas_trmvt_kernelILi512ELb1ELb1ELb0EPKPKdPKPdS4_EviT3_lllT4_lllT5_li: ; @_ZL20rocblas_trmvt_kernelILi512ELb1ELb1ELb0EPKPKdPKPdS4_EviT3_lllT4_lllT5_li
; %bb.0:
	s_load_b32 s28, s[0:1], 0x58
	s_bfe_u32 s2, ttmp6, 0x40014
	s_lshr_b32 s4, ttmp7, 16
	s_add_co_i32 s2, s2, 1
	s_bfe_u32 s5, ttmp6, 0x40008
	s_mul_i32 s2, s4, s2
	s_getreg_b32 s3, hwreg(HW_REG_IB_STS2, 6, 4)
	s_add_co_i32 s5, s5, s2
	s_cmp_eq_u32 s3, 0
	s_mov_b32 s17, 0
	s_cselect_b32 s16, s4, s5
	s_wait_kmcnt 0x0
	s_cmp_ge_u32 s16, s28
	s_cbranch_scc1 .LBB71_21
; %bb.1:
	s_clause 0x5
	s_load_b64 s[24:25], s[0:1], 0x38
	s_load_b32 s29, s[0:1], 0x0
	s_load_b128 s[8:11], s[0:1], 0x8
	s_load_b64 s[20:21], s[0:1], 0x18
	s_load_b128 s[12:15], s[0:1], 0x28
	s_load_b128 s[4:7], s[0:1], 0x48
	v_dual_mov_b32 v3, 0 :: v_dual_bitop2_b32 v2, 31, v0 bitop3:0x40
	v_mbcnt_lo_u32_b32 v8, -1, 0
	s_bfe_u32 s2, ttmp6, 0x4000c
	s_delay_alu instid0(VALU_DEP_2)
	v_dual_lshrrev_b32 v9, 2, v0 :: v_dual_mov_b32 v1, v3
	s_add_co_i32 s2, s2, 1
	s_and_b32 s18, ttmp6, 15
	s_mul_i32 s19, ttmp9, s2
	v_cmp_gt_u32_e64 s2, 24, v8
	s_add_co_i32 s18, s18, s19
	s_cmp_eq_u32 s3, 0
	v_mov_b64_e32 v[4:5], 0
	s_cselect_b32 s18, ttmp9, s18
	s_wait_kmcnt 0x0
	v_mul_u64_e32 v[6:7], s[24:25], v[0:1]
	v_cndmask_b32_e64 v10, 0, 8, s2
	v_cmp_gt_u32_e64 s2, 28, v8
	v_cmp_gt_i32_e64 s3, s29, v0
	s_lshl_b64 s[14:15], s[14:15], 3
	s_ashr_i32 s19, s18, 31
	v_cmp_gt_u32_e64 s0, 32, v0
	v_cndmask_b32_e64 v11, 0, 4, s2
	v_cmp_gt_u32_e64 s2, 30, v8
	v_cmp_gt_u32_e64 s1, 16, v0
	v_lshl_or_b32 v14, v8, 2, 64
	v_and_b32_e32 v15, 0x78, v9
	v_add_lshl_u32 v16, v10, v8, 2
	v_cndmask_b32_e64 v12, 0, 2, s2
	v_cmp_ne_u32_e64 s2, 31, v8
	v_add_lshl_u32 v17, v11, v8, 2
	s_lshl_b64 s[22:23], s[18:19], 3
	s_mul_u64 s[26:27], s[24:25], s[18:19]
	v_add_lshl_u32 v18, v12, v8, 2
	v_add_co_ci_u32_e64 v13, null, 0, v8, s2
	v_lshlrev_b32_e32 v1, 3, v2
	v_cmp_eq_u32_e64 s2, 0, v2
	s_delay_alu instid0(VALU_DEP_3) | instskip(SKIP_3) | instid1(VALU_DEP_1)
	v_dual_cndmask_b32 v2, 0, v0, s3 :: v_dual_lshlrev_b32 v19, 2, v13
	s_mul_u64 s[20:21], s[20:21], s[18:19]
	s_add_nc_u64 s[22:23], s[4:5], s[22:23]
	s_lshl_b64 s[24:25], s[24:25], 12
	v_lshlrev_b32_e32 v2, 3, v2
	s_lshl_b64 s[10:11], s[10:11], 3
	s_lshl_b64 s[26:27], s[26:27], 3
	v_cmp_eq_u32_e32 vcc_lo, 0, v0
	v_lshl_add_u64 v[6:7], v[6:7], 3, s[14:15]
	s_branch .LBB71_3
.LBB71_2:                               ;   in Loop: Header=BB71_3 Depth=1
	s_wait_xcnt 0x0
	s_or_b32 exec_lo, exec_lo, s4
	s_add_co_i32 s16, s16, 0x10000
	s_delay_alu instid0(SALU_CYCLE_1)
	s_cmp_lt_u32 s16, s28
	s_cbranch_scc0 .LBB71_21
.LBB71_3:                               ; =>This Loop Header: Depth=1
                                        ;     Child Loop BB71_15 Depth 2
	v_mov_b32_e32 v10, s16
	s_wait_dscnt 0x0
	s_clause 0x1
	global_load_b64 v[8:9], v10, s[8:9] scale_offset
	global_load_b64 v[12:13], v10, s[12:13] scale_offset
	s_wait_loadcnt 0x1
	v_add_nc_u64_e32 v[8:9], s[10:11], v[8:9]
	s_wait_xcnt 0x0
	s_delay_alu instid0(VALU_DEP_1) | instskip(SKIP_1) | instid1(VALU_DEP_2)
	v_add_nc_u64_e32 v[10:11], v[8:9], v[2:3]
	v_mov_b64_e32 v[8:9], 0
	v_lshl_add_u64 v[10:11], s[20:21], 3, v[10:11]
	s_and_saveexec_b32 s4, vcc_lo
	s_cbranch_execnz .LBB71_12
; %bb.4:                                ;   in Loop: Header=BB71_3 Depth=1
	s_or_b32 exec_lo, exec_lo, s4
	s_and_saveexec_b32 s5, s3
	s_cbranch_execnz .LBB71_13
.LBB71_5:                               ;   in Loop: Header=BB71_3 Depth=1
	s_or_b32 exec_lo, exec_lo, s5
	s_and_saveexec_b32 s4, s0
.LBB71_6:                               ;   in Loop: Header=BB71_3 Depth=1
	ds_store_b64 v1, v[4:5]
.LBB71_7:                               ;   in Loop: Header=BB71_3 Depth=1
	s_or_b32 exec_lo, exec_lo, s4
	ds_bpermute_b32 v10, v14, v8
	ds_bpermute_b32 v11, v14, v9
	s_wait_loadcnt_dscnt 0x0
	s_barrier_signal -1
	s_barrier_wait -1
	v_add_f64_e32 v[8:9], v[8:9], v[10:11]
	ds_bpermute_b32 v10, v16, v8
	ds_bpermute_b32 v11, v16, v9
	s_wait_dscnt 0x0
	v_add_f64_e32 v[8:9], v[8:9], v[10:11]
	ds_bpermute_b32 v10, v17, v8
	ds_bpermute_b32 v11, v17, v9
	s_wait_dscnt 0x0
	v_add_f64_e32 v[8:9], v[8:9], v[10:11]
	ds_bpermute_b32 v10, v18, v8
	ds_bpermute_b32 v11, v18, v9
	s_wait_dscnt 0x0
	v_add_f64_e32 v[8:9], v[8:9], v[10:11]
	ds_bpermute_b32 v10, v19, v8
	ds_bpermute_b32 v11, v19, v9
	s_and_saveexec_b32 s4, s2
	s_cbranch_execz .LBB71_9
; %bb.8:                                ;   in Loop: Header=BB71_3 Depth=1
	s_wait_dscnt 0x0
	v_add_f64_e32 v[8:9], v[8:9], v[10:11]
	ds_store_b64 v15, v[8:9]
.LBB71_9:                               ;   in Loop: Header=BB71_3 Depth=1
	s_or_b32 exec_lo, exec_lo, s4
	v_mov_b64_e32 v[8:9], 0
	s_wait_dscnt 0x0
	s_barrier_signal -1
	s_barrier_wait -1
	s_and_saveexec_b32 s4, s1
	s_cbranch_execnz .LBB71_17
; %bb.10:                               ;   in Loop: Header=BB71_3 Depth=1
	s_or_b32 exec_lo, exec_lo, s4
	s_and_saveexec_b32 s4, s0
	s_cbranch_execnz .LBB71_18
.LBB71_11:                              ;   in Loop: Header=BB71_3 Depth=1
	s_or_b32 exec_lo, exec_lo, s4
	s_and_saveexec_b32 s4, vcc_lo
	s_cbranch_execz .LBB71_2
	s_branch .LBB71_19
.LBB71_12:                              ;   in Loop: Header=BB71_3 Depth=1
	s_wait_loadcnt 0x0
	v_add_nc_u64_e32 v[8:9], s[14:15], v[12:13]
	v_lshl_add_u64 v[20:21], s[18:19], 3, v[10:11]
	s_delay_alu instid0(VALU_DEP_2)
	v_add_nc_u64_e32 v[8:9], s[26:27], v[8:9]
	flat_load_b64 v[22:23], v[20:21]
	flat_load_b64 v[24:25], v[8:9]
	s_wait_loadcnt_dscnt 0x0
	s_wait_xcnt 0x0
	v_fma_f64 v[8:9], v[22:23], v[24:25], 0
	s_or_b32 exec_lo, exec_lo, s4
	s_and_saveexec_b32 s5, s3
	s_cbranch_execz .LBB71_5
.LBB71_13:                              ;   in Loop: Header=BB71_3 Depth=1
	s_wait_loadcnt 0x0
	v_add_nc_u64_e32 v[12:13], v[12:13], v[6:7]
	v_mov_b32_e32 v20, v0
	s_mov_b32 s30, 0
	s_branch .LBB71_15
.LBB71_14:                              ;   in Loop: Header=BB71_15 Depth=2
	s_wait_xcnt 0x0
	s_or_b32 exec_lo, exec_lo, s31
	v_add_nc_u32_e32 v20, 0x200, v20
	v_add_nc_u64_e32 v[10:11], 0x1000, v[10:11]
	v_add_nc_u64_e32 v[12:13], s[24:25], v[12:13]
	s_delay_alu instid0(VALU_DEP_3) | instskip(SKIP_1) | instid1(SALU_CYCLE_1)
	v_cmp_le_i32_e64 s4, s29, v20
	s_or_b32 s30, s4, s30
	s_and_not1_b32 exec_lo, exec_lo, s30
	s_cbranch_execz .LBB71_20
.LBB71_15:                              ;   Parent Loop BB71_3 Depth=1
                                        ; =>  This Inner Loop Header: Depth=2
	s_mov_b32 s31, exec_lo
	s_delay_alu instid0(VALU_DEP_1)
	v_cmpx_lt_i32_e64 s18, v20
	s_cbranch_execz .LBB71_14
; %bb.16:                               ;   in Loop: Header=BB71_15 Depth=2
	flat_load_b64 v[22:23], v[10:11]
	flat_load_b64 v[24:25], v[12:13]
	s_wait_loadcnt_dscnt 0x0
	v_fmac_f64_e32 v[8:9], v[22:23], v[24:25]
	s_branch .LBB71_14
.LBB71_17:                              ;   in Loop: Header=BB71_3 Depth=1
	ds_load_b64 v[8:9], v1
	s_or_b32 exec_lo, exec_lo, s4
	s_and_saveexec_b32 s4, s0
	s_cbranch_execz .LBB71_11
.LBB71_18:                              ;   in Loop: Header=BB71_3 Depth=1
	s_wait_dscnt 0x0
	ds_bpermute_b32 v10, v16, v8
	ds_bpermute_b32 v11, v16, v9
	s_wait_dscnt 0x0
	v_add_f64_e32 v[8:9], v[8:9], v[10:11]
	ds_bpermute_b32 v10, v17, v8
	ds_bpermute_b32 v11, v17, v9
	s_wait_dscnt 0x0
	v_add_f64_e32 v[8:9], v[8:9], v[10:11]
	;; [unrolled: 4-line block ×4, first 2 shown]
	s_or_b32 exec_lo, exec_lo, s4
	s_and_saveexec_b32 s4, vcc_lo
	s_cbranch_execz .LBB71_2
.LBB71_19:                              ;   in Loop: Header=BB71_3 Depth=1
	s_mul_u64 s[30:31], s[6:7], s[16:17]
	s_delay_alu instid0(SALU_CYCLE_1) | instskip(NEXT) | instid1(SALU_CYCLE_1)
	s_lshl_b64 s[30:31], s[30:31], 3
	s_add_nc_u64 s[30:31], s[22:23], s[30:31]
	s_wait_dscnt 0x0
	global_store_b64 v3, v[8:9], s[30:31]
	s_branch .LBB71_2
.LBB71_20:                              ;   in Loop: Header=BB71_3 Depth=1
	s_or_b32 exec_lo, exec_lo, s30
	s_delay_alu instid0(SALU_CYCLE_1)
	s_or_b32 exec_lo, exec_lo, s5
	s_and_saveexec_b32 s4, s0
	s_cbranch_execnz .LBB71_6
	s_branch .LBB71_7
.LBB71_21:
	s_endpgm
	.section	.rodata,"a",@progbits
	.p2align	6, 0x0
	.amdhsa_kernel _ZL20rocblas_trmvt_kernelILi512ELb1ELb1ELb0EPKPKdPKPdS4_EviT3_lllT4_lllT5_li
		.amdhsa_group_segment_fixed_size 256
		.amdhsa_private_segment_fixed_size 0
		.amdhsa_kernarg_size 92
		.amdhsa_user_sgpr_count 2
		.amdhsa_user_sgpr_dispatch_ptr 0
		.amdhsa_user_sgpr_queue_ptr 0
		.amdhsa_user_sgpr_kernarg_segment_ptr 1
		.amdhsa_user_sgpr_dispatch_id 0
		.amdhsa_user_sgpr_kernarg_preload_length 0
		.amdhsa_user_sgpr_kernarg_preload_offset 0
		.amdhsa_user_sgpr_private_segment_size 0
		.amdhsa_wavefront_size32 1
		.amdhsa_uses_dynamic_stack 0
		.amdhsa_enable_private_segment 0
		.amdhsa_system_sgpr_workgroup_id_x 1
		.amdhsa_system_sgpr_workgroup_id_y 0
		.amdhsa_system_sgpr_workgroup_id_z 1
		.amdhsa_system_sgpr_workgroup_info 0
		.amdhsa_system_vgpr_workitem_id 0
		.amdhsa_next_free_vgpr 26
		.amdhsa_next_free_sgpr 32
		.amdhsa_named_barrier_count 0
		.amdhsa_reserve_vcc 1
		.amdhsa_float_round_mode_32 0
		.amdhsa_float_round_mode_16_64 0
		.amdhsa_float_denorm_mode_32 3
		.amdhsa_float_denorm_mode_16_64 3
		.amdhsa_fp16_overflow 0
		.amdhsa_memory_ordered 1
		.amdhsa_forward_progress 1
		.amdhsa_inst_pref_size 9
		.amdhsa_round_robin_scheduling 0
		.amdhsa_exception_fp_ieee_invalid_op 0
		.amdhsa_exception_fp_denorm_src 0
		.amdhsa_exception_fp_ieee_div_zero 0
		.amdhsa_exception_fp_ieee_overflow 0
		.amdhsa_exception_fp_ieee_underflow 0
		.amdhsa_exception_fp_ieee_inexact 0
		.amdhsa_exception_int_div_zero 0
	.end_amdhsa_kernel
	.section	.text._ZL20rocblas_trmvt_kernelILi512ELb1ELb1ELb0EPKPKdPKPdS4_EviT3_lllT4_lllT5_li,"axG",@progbits,_ZL20rocblas_trmvt_kernelILi512ELb1ELb1ELb0EPKPKdPKPdS4_EviT3_lllT4_lllT5_li,comdat
.Lfunc_end71:
	.size	_ZL20rocblas_trmvt_kernelILi512ELb1ELb1ELb0EPKPKdPKPdS4_EviT3_lllT4_lllT5_li, .Lfunc_end71-_ZL20rocblas_trmvt_kernelILi512ELb1ELb1ELb0EPKPKdPKPdS4_EviT3_lllT4_lllT5_li
                                        ; -- End function
	.set _ZL20rocblas_trmvt_kernelILi512ELb1ELb1ELb0EPKPKdPKPdS4_EviT3_lllT4_lllT5_li.num_vgpr, 26
	.set _ZL20rocblas_trmvt_kernelILi512ELb1ELb1ELb0EPKPKdPKPdS4_EviT3_lllT4_lllT5_li.num_agpr, 0
	.set _ZL20rocblas_trmvt_kernelILi512ELb1ELb1ELb0EPKPKdPKPdS4_EviT3_lllT4_lllT5_li.numbered_sgpr, 32
	.set _ZL20rocblas_trmvt_kernelILi512ELb1ELb1ELb0EPKPKdPKPdS4_EviT3_lllT4_lllT5_li.num_named_barrier, 0
	.set _ZL20rocblas_trmvt_kernelILi512ELb1ELb1ELb0EPKPKdPKPdS4_EviT3_lllT4_lllT5_li.private_seg_size, 0
	.set _ZL20rocblas_trmvt_kernelILi512ELb1ELb1ELb0EPKPKdPKPdS4_EviT3_lllT4_lllT5_li.uses_vcc, 1
	.set _ZL20rocblas_trmvt_kernelILi512ELb1ELb1ELb0EPKPKdPKPdS4_EviT3_lllT4_lllT5_li.uses_flat_scratch, 0
	.set _ZL20rocblas_trmvt_kernelILi512ELb1ELb1ELb0EPKPKdPKPdS4_EviT3_lllT4_lllT5_li.has_dyn_sized_stack, 0
	.set _ZL20rocblas_trmvt_kernelILi512ELb1ELb1ELb0EPKPKdPKPdS4_EviT3_lllT4_lllT5_li.has_recursion, 0
	.set _ZL20rocblas_trmvt_kernelILi512ELb1ELb1ELb0EPKPKdPKPdS4_EviT3_lllT4_lllT5_li.has_indirect_call, 0
	.section	.AMDGPU.csdata,"",@progbits
; Kernel info:
; codeLenInByte = 1148
; TotalNumSgprs: 34
; NumVgprs: 26
; ScratchSize: 0
; MemoryBound: 1
; FloatMode: 240
; IeeeMode: 1
; LDSByteSize: 256 bytes/workgroup (compile time only)
; SGPRBlocks: 0
; VGPRBlocks: 1
; NumSGPRsForWavesPerEU: 34
; NumVGPRsForWavesPerEU: 26
; NamedBarCnt: 0
; Occupancy: 16
; WaveLimiterHint : 1
; COMPUTE_PGM_RSRC2:SCRATCH_EN: 0
; COMPUTE_PGM_RSRC2:USER_SGPR: 2
; COMPUTE_PGM_RSRC2:TRAP_HANDLER: 0
; COMPUTE_PGM_RSRC2:TGID_X_EN: 1
; COMPUTE_PGM_RSRC2:TGID_Y_EN: 0
; COMPUTE_PGM_RSRC2:TGID_Z_EN: 1
; COMPUTE_PGM_RSRC2:TIDIG_COMP_CNT: 0
	.section	.text._ZL20rocblas_trmvn_kernelILi64ELi16ELb0ELb1EPKPK19rocblas_complex_numIfEPKPS1_S6_EviT3_lllT4_lllT5_li,"axG",@progbits,_ZL20rocblas_trmvn_kernelILi64ELi16ELb0ELb1EPKPK19rocblas_complex_numIfEPKPS1_S6_EviT3_lllT4_lllT5_li,comdat
	.globl	_ZL20rocblas_trmvn_kernelILi64ELi16ELb0ELb1EPKPK19rocblas_complex_numIfEPKPS1_S6_EviT3_lllT4_lllT5_li ; -- Begin function _ZL20rocblas_trmvn_kernelILi64ELi16ELb0ELb1EPKPK19rocblas_complex_numIfEPKPS1_S6_EviT3_lllT4_lllT5_li
	.p2align	8
	.type	_ZL20rocblas_trmvn_kernelILi64ELi16ELb0ELb1EPKPK19rocblas_complex_numIfEPKPS1_S6_EviT3_lllT4_lllT5_li,@function
_ZL20rocblas_trmvn_kernelILi64ELi16ELb0ELb1EPKPK19rocblas_complex_numIfEPKPS1_S6_EviT3_lllT4_lllT5_li: ; @_ZL20rocblas_trmvn_kernelILi64ELi16ELb0ELb1EPKPK19rocblas_complex_numIfEPKPS1_S6_EviT3_lllT4_lllT5_li
; %bb.0:
	s_load_b32 s3, s[0:1], 0x58
	s_bfe_u32 s2, ttmp6, 0x40014
	s_lshr_b32 s4, ttmp7, 16
	s_add_co_i32 s2, s2, 1
	s_bfe_u32 s6, ttmp6, 0x40008
	s_mul_i32 s5, s4, s2
	s_getreg_b32 s2, hwreg(HW_REG_IB_STS2, 6, 4)
	s_add_co_i32 s6, s6, s5
	s_cmp_eq_u32 s2, 0
	s_mov_b32 s17, 0
	s_cselect_b32 s16, s4, s6
	s_wait_kmcnt 0x0
	s_cmp_ge_u32 s16, s3
	s_cbranch_scc1 .LBB72_14
; %bb.1:
	s_clause 0x2
	s_load_b32 s4, s[0:1], 0x6c
	s_load_b64 s[20:21], s[0:1], 0x18
	s_load_b64 s[22:23], s[0:1], 0x38
	s_bfe_u32 s5, ttmp6, 0x4000c
	s_and_b32 s6, ttmp6, 15
	s_add_co_i32 s5, s5, 1
	v_and_b32_e32 v12, 0x3ff, v0
	s_mul_i32 s5, ttmp9, s5
	v_bfe_u32 v2, v0, 10, 10
	s_add_co_i32 s8, s6, s5
	s_load_b128 s[12:15], s[0:1], 0x8
	s_delay_alu instid0(VALU_DEP_1)
	v_dual_lshlrev_b32 v15, 3, v12 :: v_dual_lshlrev_b32 v16, 9, v2
	s_wait_kmcnt 0x0
	s_and_b32 s19, s4, 0xffff
	s_cmp_eq_u32 s2, 0
	s_load_b128 s[4:7], s[0:1], 0x28
	s_cselect_b32 s2, ttmp9, s8
	s_clause 0x1
	s_load_b32 s18, s[0:1], 0x0
	s_load_b128 s[8:11], s[0:1], 0x48
	v_lshl_add_u32 v0, s2, 6, v12
	v_mov_b32_e32 v3, 0
	v_mad_u32_u24 v14, v2, s19, v12
	v_cmp_eq_u32_e64 s2, 0, v2
	s_delay_alu instid0(VALU_DEP_4) | instskip(NEXT) | instid1(VALU_DEP_4)
	v_ashrrev_i32_e32 v1, 31, v0
	v_mul_u64_e32 v[6:7], s[20:21], v[2:3]
	v_mul_u64_e32 v[10:11], s[22:23], v[2:3]
	v_mul_u32_u24_e32 v3, s19, v2
	s_wait_xcnt 0x0
	v_cmp_gt_u32_e64 s1, 64, v14
	v_mul_u64_e32 v[4:5], s[22:23], v[0:1]
	v_lshlrev_b64_e32 v[8:9], 3, v[0:1]
	s_lshl_b64 s[14:15], s[14:15], 3
	v_lshl_add_u32 v1, v3, 3, v15
	v_add_nc_u32_e32 v3, v15, v16
	s_wait_kmcnt 0x0
	s_lshl_b64 s[6:7], s[6:7], 3
	v_cmp_gt_i32_e32 vcc_lo, s18, v0
	v_cmp_gt_i32_e64 s0, s18, v2
	s_and_b32 s19, s2, vcc_lo
	v_lshl_add_u64 v[12:13], v[6:7], 3, s[14:15]
	v_add_nc_u64_e32 v[6:7], s[8:9], v[8:9]
	v_lshl_add_u64 v[10:11], v[10:11], 3, s[6:7]
	s_lshl_b64 s[8:9], s[22:23], 7
	s_lshl_b64 s[14:15], s[20:21], 7
	v_add_nc_u64_e32 v[8:9], v[12:13], v[8:9]
	s_branch .LBB72_3
.LBB72_2:                               ;   in Loop: Header=BB72_3 Depth=1
	s_wait_xcnt 0x0
	s_or_b32 exec_lo, exec_lo, s2
	s_add_co_i32 s16, s16, 0x10000
	s_delay_alu instid0(SALU_CYCLE_1)
	s_cmp_lt_u32 s16, s3
	s_cbranch_scc0 .LBB72_14
.LBB72_3:                               ; =>This Loop Header: Depth=1
                                        ;     Child Loop BB72_8 Depth 2
	v_mov_b32_e32 v12, s16
	s_clause 0x1
	global_load_b64 v[16:17], v12, s[12:13] scale_offset
	global_load_b64 v[14:15], v12, s[4:5] scale_offset
	s_wait_xcnt 0x0
	v_mov_b64_e32 v[12:13], 0
	s_and_saveexec_b32 s2, s19
	s_cbranch_execz .LBB72_5
; %bb.4:                                ;   in Loop: Header=BB72_3 Depth=1
	s_wait_loadcnt 0x0
	v_add_nc_u64_e32 v[12:13], s[6:7], v[14:15]
	s_delay_alu instid0(VALU_DEP_1)
	v_lshl_add_u64 v[12:13], v[4:5], 3, v[12:13]
	flat_load_b64 v[12:13], v[12:13]
.LBB72_5:                               ;   in Loop: Header=BB72_3 Depth=1
	s_wait_xcnt 0x0
	s_or_b32 exec_lo, exec_lo, s2
	s_and_saveexec_b32 s20, s0
	s_cbranch_execz .LBB72_11
; %bb.6:                                ;   in Loop: Header=BB72_3 Depth=1
	s_wait_loadcnt 0x0
	v_add_nc_u64_e32 v[14:15], v[14:15], v[10:11]
	v_add_nc_u64_e32 v[16:17], v[16:17], v[8:9]
	v_mov_b32_e32 v18, v2
	s_mov_b32 s21, 0
	s_branch .LBB72_8
.LBB72_7:                               ;   in Loop: Header=BB72_8 Depth=2
	s_wait_xcnt 0x0
	s_or_b32 exec_lo, exec_lo, s22
	v_add_nc_u32_e32 v18, 16, v18
	v_add_nc_u64_e32 v[14:15], s[8:9], v[14:15]
	v_add_nc_u64_e32 v[16:17], s[14:15], v[16:17]
	s_delay_alu instid0(VALU_DEP_3) | instskip(SKIP_1) | instid1(SALU_CYCLE_1)
	v_cmp_le_i32_e64 s2, s18, v18
	s_or_b32 s21, s2, s21
	s_and_not1_b32 exec_lo, exec_lo, s21
	s_cbranch_execz .LBB72_10
.LBB72_8:                               ;   Parent Loop BB72_3 Depth=1
                                        ; =>  This Inner Loop Header: Depth=2
	s_mov_b32 s22, exec_lo
	s_delay_alu instid0(VALU_DEP_1)
	v_cmpx_gt_i32_e64 v18, v0
	s_cbranch_execz .LBB72_7
; %bb.9:                                ;   in Loop: Header=BB72_8 Depth=2
	flat_load_b64 v[20:21], v[16:17]
	flat_load_b64 v[22:23], v[14:15]
	s_wait_loadcnt_dscnt 0x0
	v_pk_mul_f32 v[24:25], v[22:23], v[20:21] op_sel:[1,1] op_sel_hi:[0,1]
	s_delay_alu instid0(VALU_DEP_1) | instskip(SKIP_1) | instid1(VALU_DEP_2)
	v_pk_fma_f32 v[26:27], v[22:23], v[20:21], v[24:25] op_sel_hi:[1,0,1]
	v_pk_fma_f32 v[20:21], v[22:23], v[20:21], v[24:25] neg_lo:[0,0,1] neg_hi:[0,0,1]
	v_mov_b32_e32 v21, v27
	s_delay_alu instid0(VALU_DEP_1)
	v_pk_add_f32 v[12:13], v[12:13], v[20:21]
	s_branch .LBB72_7
.LBB72_10:                              ;   in Loop: Header=BB72_3 Depth=1
	s_or_b32 exec_lo, exec_lo, s21
.LBB72_11:                              ;   in Loop: Header=BB72_3 Depth=1
	s_delay_alu instid0(SALU_CYCLE_1)
	s_or_b32 exec_lo, exec_lo, s20
	s_wait_loadcnt_dscnt 0x0
	ds_store_b64 v3, v[12:13]
	s_wait_dscnt 0x0
	s_barrier_signal -1
	s_barrier_wait -1
	s_and_saveexec_b32 s2, s1
	s_cbranch_execz .LBB72_2
; %bb.12:                               ;   in Loop: Header=BB72_3 Depth=1
	ds_load_2addr_stride64_b64 v[12:15], v1 offset1:1
	ds_load_2addr_stride64_b64 v[16:19], v1 offset0:2 offset1:3
	ds_load_2addr_stride64_b64 v[20:23], v1 offset0:4 offset1:5
	s_wait_dscnt 0x2
	v_pk_add_f32 v[24:25], v[12:13], v[14:15]
	ds_load_2addr_stride64_b64 v[12:15], v1 offset0:6 offset1:7
	s_wait_dscnt 0x2
	v_pk_add_f32 v[16:17], v[24:25], v[16:17]
	s_delay_alu instid0(VALU_DEP_1) | instskip(SKIP_3) | instid1(VALU_DEP_1)
	v_pk_add_f32 v[24:25], v[16:17], v[18:19]
	ds_load_2addr_stride64_b64 v[16:19], v1 offset0:8 offset1:9
	s_wait_dscnt 0x2
	v_pk_add_f32 v[20:21], v[24:25], v[20:21]
	v_pk_add_f32 v[24:25], v[20:21], v[22:23]
	ds_load_2addr_stride64_b64 v[20:23], v1 offset0:10 offset1:11
	s_wait_dscnt 0x2
	v_pk_add_f32 v[12:13], v[24:25], v[12:13]
	s_delay_alu instid0(VALU_DEP_1) | instskip(SKIP_1) | instid1(VALU_DEP_1)
	v_pk_add_f32 v[12:13], v[12:13], v[14:15]
	s_wait_dscnt 0x1
	v_pk_add_f32 v[16:17], v[12:13], v[16:17]
	ds_load_2addr_stride64_b64 v[12:15], v1 offset0:12 offset1:13
	v_pk_add_f32 v[16:17], v[16:17], v[18:19]
	s_wait_dscnt 0x1
	s_delay_alu instid0(VALU_DEP_1) | instskip(SKIP_3) | instid1(VALU_DEP_1)
	v_pk_add_f32 v[20:21], v[16:17], v[20:21]
	ds_load_2addr_stride64_b64 v[16:19], v1 offset0:14 offset1:15
	v_pk_add_f32 v[20:21], v[20:21], v[22:23]
	s_wait_dscnt 0x1
	v_pk_add_f32 v[12:13], v[20:21], v[12:13]
	s_delay_alu instid0(VALU_DEP_1) | instskip(SKIP_1) | instid1(VALU_DEP_1)
	v_pk_add_f32 v[12:13], v[12:13], v[14:15]
	s_wait_dscnt 0x0
	v_pk_add_f32 v[12:13], v[12:13], v[16:17]
	s_delay_alu instid0(VALU_DEP_1)
	v_pk_add_f32 v[12:13], v[12:13], v[18:19]
	ds_store_b64 v1, v[12:13]
	s_and_b32 exec_lo, exec_lo, vcc_lo
	s_cbranch_execz .LBB72_2
; %bb.13:                               ;   in Loop: Header=BB72_3 Depth=1
	s_mul_u64 s[20:21], s[10:11], s[16:17]
	s_delay_alu instid0(SALU_CYCLE_1)
	v_lshl_add_u64 v[14:15], s[20:21], 3, v[6:7]
	global_store_b64 v[14:15], v[12:13], off
	s_branch .LBB72_2
.LBB72_14:
	s_endpgm
	.section	.rodata,"a",@progbits
	.p2align	6, 0x0
	.amdhsa_kernel _ZL20rocblas_trmvn_kernelILi64ELi16ELb0ELb1EPKPK19rocblas_complex_numIfEPKPS1_S6_EviT3_lllT4_lllT5_li
		.amdhsa_group_segment_fixed_size 8192
		.amdhsa_private_segment_fixed_size 0
		.amdhsa_kernarg_size 352
		.amdhsa_user_sgpr_count 2
		.amdhsa_user_sgpr_dispatch_ptr 0
		.amdhsa_user_sgpr_queue_ptr 0
		.amdhsa_user_sgpr_kernarg_segment_ptr 1
		.amdhsa_user_sgpr_dispatch_id 0
		.amdhsa_user_sgpr_kernarg_preload_length 0
		.amdhsa_user_sgpr_kernarg_preload_offset 0
		.amdhsa_user_sgpr_private_segment_size 0
		.amdhsa_wavefront_size32 1
		.amdhsa_uses_dynamic_stack 0
		.amdhsa_enable_private_segment 0
		.amdhsa_system_sgpr_workgroup_id_x 1
		.amdhsa_system_sgpr_workgroup_id_y 0
		.amdhsa_system_sgpr_workgroup_id_z 1
		.amdhsa_system_sgpr_workgroup_info 0
		.amdhsa_system_vgpr_workitem_id 1
		.amdhsa_next_free_vgpr 28
		.amdhsa_next_free_sgpr 24
		.amdhsa_named_barrier_count 0
		.amdhsa_reserve_vcc 1
		.amdhsa_float_round_mode_32 0
		.amdhsa_float_round_mode_16_64 0
		.amdhsa_float_denorm_mode_32 3
		.amdhsa_float_denorm_mode_16_64 3
		.amdhsa_fp16_overflow 0
		.amdhsa_memory_ordered 1
		.amdhsa_forward_progress 1
		.amdhsa_inst_pref_size 8
		.amdhsa_round_robin_scheduling 0
		.amdhsa_exception_fp_ieee_invalid_op 0
		.amdhsa_exception_fp_denorm_src 0
		.amdhsa_exception_fp_ieee_div_zero 0
		.amdhsa_exception_fp_ieee_overflow 0
		.amdhsa_exception_fp_ieee_underflow 0
		.amdhsa_exception_fp_ieee_inexact 0
		.amdhsa_exception_int_div_zero 0
	.end_amdhsa_kernel
	.section	.text._ZL20rocblas_trmvn_kernelILi64ELi16ELb0ELb1EPKPK19rocblas_complex_numIfEPKPS1_S6_EviT3_lllT4_lllT5_li,"axG",@progbits,_ZL20rocblas_trmvn_kernelILi64ELi16ELb0ELb1EPKPK19rocblas_complex_numIfEPKPS1_S6_EviT3_lllT4_lllT5_li,comdat
.Lfunc_end72:
	.size	_ZL20rocblas_trmvn_kernelILi64ELi16ELb0ELb1EPKPK19rocblas_complex_numIfEPKPS1_S6_EviT3_lllT4_lllT5_li, .Lfunc_end72-_ZL20rocblas_trmvn_kernelILi64ELi16ELb0ELb1EPKPK19rocblas_complex_numIfEPKPS1_S6_EviT3_lllT4_lllT5_li
                                        ; -- End function
	.set _ZL20rocblas_trmvn_kernelILi64ELi16ELb0ELb1EPKPK19rocblas_complex_numIfEPKPS1_S6_EviT3_lllT4_lllT5_li.num_vgpr, 28
	.set _ZL20rocblas_trmvn_kernelILi64ELi16ELb0ELb1EPKPK19rocblas_complex_numIfEPKPS1_S6_EviT3_lllT4_lllT5_li.num_agpr, 0
	.set _ZL20rocblas_trmvn_kernelILi64ELi16ELb0ELb1EPKPK19rocblas_complex_numIfEPKPS1_S6_EviT3_lllT4_lllT5_li.numbered_sgpr, 24
	.set _ZL20rocblas_trmvn_kernelILi64ELi16ELb0ELb1EPKPK19rocblas_complex_numIfEPKPS1_S6_EviT3_lllT4_lllT5_li.num_named_barrier, 0
	.set _ZL20rocblas_trmvn_kernelILi64ELi16ELb0ELb1EPKPK19rocblas_complex_numIfEPKPS1_S6_EviT3_lllT4_lllT5_li.private_seg_size, 0
	.set _ZL20rocblas_trmvn_kernelILi64ELi16ELb0ELb1EPKPK19rocblas_complex_numIfEPKPS1_S6_EviT3_lllT4_lllT5_li.uses_vcc, 1
	.set _ZL20rocblas_trmvn_kernelILi64ELi16ELb0ELb1EPKPK19rocblas_complex_numIfEPKPS1_S6_EviT3_lllT4_lllT5_li.uses_flat_scratch, 0
	.set _ZL20rocblas_trmvn_kernelILi64ELi16ELb0ELb1EPKPK19rocblas_complex_numIfEPKPS1_S6_EviT3_lllT4_lllT5_li.has_dyn_sized_stack, 0
	.set _ZL20rocblas_trmvn_kernelILi64ELi16ELb0ELb1EPKPK19rocblas_complex_numIfEPKPS1_S6_EviT3_lllT4_lllT5_li.has_recursion, 0
	.set _ZL20rocblas_trmvn_kernelILi64ELi16ELb0ELb1EPKPK19rocblas_complex_numIfEPKPS1_S6_EviT3_lllT4_lllT5_li.has_indirect_call, 0
	.section	.AMDGPU.csdata,"",@progbits
; Kernel info:
; codeLenInByte = 972
; TotalNumSgprs: 26
; NumVgprs: 28
; ScratchSize: 0
; MemoryBound: 0
; FloatMode: 240
; IeeeMode: 1
; LDSByteSize: 8192 bytes/workgroup (compile time only)
; SGPRBlocks: 0
; VGPRBlocks: 1
; NumSGPRsForWavesPerEU: 26
; NumVGPRsForWavesPerEU: 28
; NamedBarCnt: 0
; Occupancy: 16
; WaveLimiterHint : 1
; COMPUTE_PGM_RSRC2:SCRATCH_EN: 0
; COMPUTE_PGM_RSRC2:USER_SGPR: 2
; COMPUTE_PGM_RSRC2:TRAP_HANDLER: 0
; COMPUTE_PGM_RSRC2:TGID_X_EN: 1
; COMPUTE_PGM_RSRC2:TGID_Y_EN: 0
; COMPUTE_PGM_RSRC2:TGID_Z_EN: 1
; COMPUTE_PGM_RSRC2:TIDIG_COMP_CNT: 1
	.section	.text._ZL20rocblas_trmvt_kernelILi512ELb0ELb0ELb1EPKPK19rocblas_complex_numIfEPKPS1_S6_EviT3_lllT4_lllT5_li,"axG",@progbits,_ZL20rocblas_trmvt_kernelILi512ELb0ELb0ELb1EPKPK19rocblas_complex_numIfEPKPS1_S6_EviT3_lllT4_lllT5_li,comdat
	.globl	_ZL20rocblas_trmvt_kernelILi512ELb0ELb0ELb1EPKPK19rocblas_complex_numIfEPKPS1_S6_EviT3_lllT4_lllT5_li ; -- Begin function _ZL20rocblas_trmvt_kernelILi512ELb0ELb0ELb1EPKPK19rocblas_complex_numIfEPKPS1_S6_EviT3_lllT4_lllT5_li
	.p2align	8
	.type	_ZL20rocblas_trmvt_kernelILi512ELb0ELb0ELb1EPKPK19rocblas_complex_numIfEPKPS1_S6_EviT3_lllT4_lllT5_li,@function
_ZL20rocblas_trmvt_kernelILi512ELb0ELb0ELb1EPKPK19rocblas_complex_numIfEPKPS1_S6_EviT3_lllT4_lllT5_li: ; @_ZL20rocblas_trmvt_kernelILi512ELb0ELb0ELb1EPKPK19rocblas_complex_numIfEPKPS1_S6_EviT3_lllT4_lllT5_li
; %bb.0:
	s_load_b32 s28, s[0:1], 0x58
	s_bfe_u32 s2, ttmp6, 0x40014
	s_lshr_b32 s4, ttmp7, 16
	s_add_co_i32 s2, s2, 1
	s_bfe_u32 s5, ttmp6, 0x40008
	s_mul_i32 s2, s4, s2
	s_getreg_b32 s3, hwreg(HW_REG_IB_STS2, 6, 4)
	s_add_co_i32 s5, s5, s2
	s_cmp_eq_u32 s3, 0
	s_mov_b32 s17, 0
	s_cselect_b32 s16, s4, s5
	s_wait_kmcnt 0x0
	s_cmp_ge_u32 s16, s28
	s_cbranch_scc1 .LBB73_21
; %bb.1:
	s_clause 0x5
	s_load_b64 s[24:25], s[0:1], 0x38
	s_load_b32 s29, s[0:1], 0x0
	s_load_b128 s[8:11], s[0:1], 0x8
	s_load_b64 s[20:21], s[0:1], 0x18
	s_load_b128 s[12:15], s[0:1], 0x28
	s_load_b128 s[4:7], s[0:1], 0x48
	v_dual_mov_b32 v3, 0 :: v_dual_bitop2_b32 v2, 31, v0 bitop3:0x40
	v_mbcnt_lo_u32_b32 v8, -1, 0
	s_bfe_u32 s2, ttmp6, 0x4000c
	s_delay_alu instid0(VALU_DEP_2)
	v_dual_lshrrev_b32 v9, 2, v0 :: v_dual_mov_b32 v1, v3
	s_add_co_i32 s2, s2, 1
	s_and_b32 s18, ttmp6, 15
	s_mul_i32 s19, ttmp9, s2
	v_cmp_gt_u32_e64 s2, 24, v8
	s_add_co_i32 s18, s18, s19
	s_cmp_eq_u32 s3, 0
	v_mov_b64_e32 v[4:5], 0
	s_cselect_b32 s18, ttmp9, s18
	s_wait_kmcnt 0x0
	v_mul_u64_e32 v[6:7], s[24:25], v[0:1]
	v_cndmask_b32_e64 v10, 0, 8, s2
	v_cmp_gt_u32_e64 s2, 28, v8
	v_cmp_gt_i32_e64 s3, s29, v0
	s_lshl_b64 s[14:15], s[14:15], 3
	s_ashr_i32 s19, s18, 31
	v_cmp_gt_u32_e64 s0, 32, v0
	v_cndmask_b32_e64 v11, 0, 4, s2
	v_cmp_gt_u32_e64 s2, 30, v8
	v_cmp_gt_u32_e64 s1, 16, v0
	v_lshl_or_b32 v14, v8, 2, 64
	v_and_b32_e32 v15, 0x78, v9
	v_add_lshl_u32 v16, v10, v8, 2
	v_cndmask_b32_e64 v12, 0, 2, s2
	v_cmp_ne_u32_e64 s2, 31, v8
	v_add_lshl_u32 v17, v11, v8, 2
	s_lshl_b64 s[22:23], s[18:19], 3
	s_mul_u64 s[26:27], s[24:25], s[18:19]
	v_add_lshl_u32 v18, v12, v8, 2
	v_add_co_ci_u32_e64 v13, null, 0, v8, s2
	v_lshlrev_b32_e32 v1, 3, v2
	v_cmp_eq_u32_e64 s2, 0, v2
	s_delay_alu instid0(VALU_DEP_3) | instskip(SKIP_3) | instid1(VALU_DEP_1)
	v_dual_cndmask_b32 v2, 0, v0, s3 :: v_dual_lshlrev_b32 v19, 2, v13
	s_mul_u64 s[20:21], s[20:21], s[18:19]
	s_add_nc_u64 s[22:23], s[4:5], s[22:23]
	s_lshl_b64 s[24:25], s[24:25], 12
	v_lshlrev_b32_e32 v2, 3, v2
	s_lshl_b64 s[26:27], s[26:27], 3
	s_lshl_b64 s[10:11], s[10:11], 3
	v_cmp_eq_u32_e32 vcc_lo, 0, v0
	v_lshl_add_u64 v[6:7], v[6:7], 3, s[14:15]
	s_branch .LBB73_3
.LBB73_2:                               ;   in Loop: Header=BB73_3 Depth=1
	s_wait_xcnt 0x0
	s_or_b32 exec_lo, exec_lo, s4
	s_add_co_i32 s16, s16, 0x10000
	s_delay_alu instid0(SALU_CYCLE_1)
	s_cmp_lt_u32 s16, s28
	s_cbranch_scc0 .LBB73_21
.LBB73_3:                               ; =>This Loop Header: Depth=1
                                        ;     Child Loop BB73_15 Depth 2
	s_wait_dscnt 0x0
	v_mov_b32_e32 v8, s16
	s_clause 0x1
	global_load_b64 v[12:13], v8, s[8:9] scale_offset
	global_load_b64 v[10:11], v8, s[12:13] scale_offset
	s_wait_xcnt 0x0
	v_mov_b64_e32 v[8:9], 0
	s_and_saveexec_b32 s4, vcc_lo
	s_cbranch_execnz .LBB73_12
; %bb.4:                                ;   in Loop: Header=BB73_3 Depth=1
	s_or_b32 exec_lo, exec_lo, s4
	s_and_saveexec_b32 s5, s3
	s_cbranch_execnz .LBB73_13
.LBB73_5:                               ;   in Loop: Header=BB73_3 Depth=1
	s_or_b32 exec_lo, exec_lo, s5
	s_and_saveexec_b32 s4, s0
.LBB73_6:                               ;   in Loop: Header=BB73_3 Depth=1
	ds_store_b64 v1, v[4:5]
.LBB73_7:                               ;   in Loop: Header=BB73_3 Depth=1
	s_or_b32 exec_lo, exec_lo, s4
	s_wait_loadcnt 0x0
	ds_bpermute_b32 v10, v14, v8
	ds_bpermute_b32 v11, v14, v9
	s_wait_dscnt 0x0
	s_barrier_signal -1
	s_barrier_wait -1
	v_pk_add_f32 v[8:9], v[8:9], v[10:11]
	ds_bpermute_b32 v10, v16, v8
	ds_bpermute_b32 v11, v16, v9
	s_wait_dscnt 0x0
	v_pk_add_f32 v[8:9], v[8:9], v[10:11]
	ds_bpermute_b32 v10, v17, v8
	ds_bpermute_b32 v11, v17, v9
	s_wait_dscnt 0x0
	;; [unrolled: 4-line block ×3, first 2 shown]
	v_pk_add_f32 v[8:9], v[8:9], v[10:11]
	ds_bpermute_b32 v10, v19, v8
	ds_bpermute_b32 v11, v19, v9
	s_and_saveexec_b32 s4, s2
	s_cbranch_execz .LBB73_9
; %bb.8:                                ;   in Loop: Header=BB73_3 Depth=1
	s_wait_dscnt 0x0
	v_pk_add_f32 v[8:9], v[8:9], v[10:11]
	ds_store_b64 v15, v[8:9]
.LBB73_9:                               ;   in Loop: Header=BB73_3 Depth=1
	s_or_b32 exec_lo, exec_lo, s4
	v_mov_b64_e32 v[8:9], 0
	s_wait_dscnt 0x0
	s_barrier_signal -1
	s_barrier_wait -1
	s_and_saveexec_b32 s4, s1
	s_cbranch_execnz .LBB73_17
; %bb.10:                               ;   in Loop: Header=BB73_3 Depth=1
	s_or_b32 exec_lo, exec_lo, s4
	s_and_saveexec_b32 s4, s0
	s_cbranch_execnz .LBB73_18
.LBB73_11:                              ;   in Loop: Header=BB73_3 Depth=1
	s_or_b32 exec_lo, exec_lo, s4
	s_and_saveexec_b32 s4, vcc_lo
	s_cbranch_execz .LBB73_2
	s_branch .LBB73_19
.LBB73_12:                              ;   in Loop: Header=BB73_3 Depth=1
	s_wait_loadcnt 0x0
	v_add_nc_u64_e32 v[8:9], s[14:15], v[10:11]
	s_delay_alu instid0(VALU_DEP_1)
	v_add_nc_u64_e32 v[8:9], s[26:27], v[8:9]
	flat_load_b64 v[8:9], v[8:9]
	s_wait_loadcnt_dscnt 0x0
	s_wait_xcnt 0x0
	v_pk_add_f32 v[8:9], v[8:9], 0 op_sel_hi:[1,0]
	s_or_b32 exec_lo, exec_lo, s4
	s_and_saveexec_b32 s5, s3
	s_cbranch_execz .LBB73_5
.LBB73_13:                              ;   in Loop: Header=BB73_3 Depth=1
	s_wait_loadcnt 0x1
	v_add_nc_u64_e32 v[12:13], s[10:11], v[12:13]
	s_wait_loadcnt 0x0
	v_add_nc_u64_e32 v[10:11], v[10:11], v[6:7]
	v_mov_b32_e32 v20, v0
	s_mov_b32 s19, 0
	s_delay_alu instid0(VALU_DEP_3) | instskip(NEXT) | instid1(VALU_DEP_1)
	v_add_nc_u64_e32 v[12:13], v[12:13], v[2:3]
	v_lshl_add_u64 v[12:13], s[20:21], 3, v[12:13]
	s_branch .LBB73_15
.LBB73_14:                              ;   in Loop: Header=BB73_15 Depth=2
	s_wait_xcnt 0x0
	s_or_b32 exec_lo, exec_lo, s30
	v_add_nc_u32_e32 v20, 0x200, v20
	v_add_nc_u64_e32 v[12:13], 0x1000, v[12:13]
	v_add_nc_u64_e32 v[10:11], s[24:25], v[10:11]
	s_delay_alu instid0(VALU_DEP_3) | instskip(SKIP_1) | instid1(SALU_CYCLE_1)
	v_cmp_le_i32_e64 s4, s29, v20
	s_or_b32 s19, s4, s19
	s_and_not1_b32 exec_lo, exec_lo, s19
	s_cbranch_execz .LBB73_20
.LBB73_15:                              ;   Parent Loop BB73_3 Depth=1
                                        ; =>  This Inner Loop Header: Depth=2
	s_mov_b32 s30, exec_lo
	v_cmpx_gt_i32_e64 s18, v20
	s_cbranch_execz .LBB73_14
; %bb.16:                               ;   in Loop: Header=BB73_15 Depth=2
	flat_load_b64 v[22:23], v[12:13]
	flat_load_b64 v[24:25], v[10:11]
	s_wait_loadcnt_dscnt 0x0
	v_pk_mul_f32 v[26:27], v[24:25], v[22:23] op_sel:[1,1] op_sel_hi:[0,1]
	s_delay_alu instid0(VALU_DEP_1) | instskip(SKIP_1) | instid1(VALU_DEP_2)
	v_pk_fma_f32 v[28:29], v[24:25], v[22:23], v[26:27] op_sel_hi:[1,0,1]
	v_pk_fma_f32 v[22:23], v[24:25], v[22:23], v[26:27] neg_lo:[0,0,1] neg_hi:[0,0,1]
	v_mov_b32_e32 v23, v29
	s_delay_alu instid0(VALU_DEP_1)
	v_pk_add_f32 v[8:9], v[8:9], v[22:23]
	s_branch .LBB73_14
.LBB73_17:                              ;   in Loop: Header=BB73_3 Depth=1
	ds_load_b64 v[8:9], v1
	s_or_b32 exec_lo, exec_lo, s4
	s_and_saveexec_b32 s4, s0
	s_cbranch_execz .LBB73_11
.LBB73_18:                              ;   in Loop: Header=BB73_3 Depth=1
	s_wait_dscnt 0x0
	ds_bpermute_b32 v10, v16, v8
	ds_bpermute_b32 v11, v16, v9
	s_wait_dscnt 0x0
	v_pk_add_f32 v[8:9], v[8:9], v[10:11]
	ds_bpermute_b32 v10, v17, v8
	ds_bpermute_b32 v11, v17, v9
	s_wait_dscnt 0x0
	v_pk_add_f32 v[8:9], v[8:9], v[10:11]
	;; [unrolled: 4-line block ×4, first 2 shown]
	s_or_b32 exec_lo, exec_lo, s4
	s_and_saveexec_b32 s4, vcc_lo
	s_cbranch_execz .LBB73_2
.LBB73_19:                              ;   in Loop: Header=BB73_3 Depth=1
	s_mul_u64 s[30:31], s[6:7], s[16:17]
	s_delay_alu instid0(SALU_CYCLE_1) | instskip(NEXT) | instid1(SALU_CYCLE_1)
	s_lshl_b64 s[30:31], s[30:31], 3
	s_add_nc_u64 s[30:31], s[22:23], s[30:31]
	s_wait_dscnt 0x0
	global_store_b64 v3, v[8:9], s[30:31]
	s_branch .LBB73_2
.LBB73_20:                              ;   in Loop: Header=BB73_3 Depth=1
	s_or_b32 exec_lo, exec_lo, s19
	s_delay_alu instid0(SALU_CYCLE_1)
	s_or_b32 exec_lo, exec_lo, s5
	s_and_saveexec_b32 s4, s0
	s_cbranch_execnz .LBB73_6
	s_branch .LBB73_7
.LBB73_21:
	s_endpgm
	.section	.rodata,"a",@progbits
	.p2align	6, 0x0
	.amdhsa_kernel _ZL20rocblas_trmvt_kernelILi512ELb0ELb0ELb1EPKPK19rocblas_complex_numIfEPKPS1_S6_EviT3_lllT4_lllT5_li
		.amdhsa_group_segment_fixed_size 256
		.amdhsa_private_segment_fixed_size 0
		.amdhsa_kernarg_size 92
		.amdhsa_user_sgpr_count 2
		.amdhsa_user_sgpr_dispatch_ptr 0
		.amdhsa_user_sgpr_queue_ptr 0
		.amdhsa_user_sgpr_kernarg_segment_ptr 1
		.amdhsa_user_sgpr_dispatch_id 0
		.amdhsa_user_sgpr_kernarg_preload_length 0
		.amdhsa_user_sgpr_kernarg_preload_offset 0
		.amdhsa_user_sgpr_private_segment_size 0
		.amdhsa_wavefront_size32 1
		.amdhsa_uses_dynamic_stack 0
		.amdhsa_enable_private_segment 0
		.amdhsa_system_sgpr_workgroup_id_x 1
		.amdhsa_system_sgpr_workgroup_id_y 0
		.amdhsa_system_sgpr_workgroup_id_z 1
		.amdhsa_system_sgpr_workgroup_info 0
		.amdhsa_system_vgpr_workitem_id 0
		.amdhsa_next_free_vgpr 30
		.amdhsa_next_free_sgpr 32
		.amdhsa_named_barrier_count 0
		.amdhsa_reserve_vcc 1
		.amdhsa_float_round_mode_32 0
		.amdhsa_float_round_mode_16_64 0
		.amdhsa_float_denorm_mode_32 3
		.amdhsa_float_denorm_mode_16_64 3
		.amdhsa_fp16_overflow 0
		.amdhsa_memory_ordered 1
		.amdhsa_forward_progress 1
		.amdhsa_inst_pref_size 10
		.amdhsa_round_robin_scheduling 0
		.amdhsa_exception_fp_ieee_invalid_op 0
		.amdhsa_exception_fp_denorm_src 0
		.amdhsa_exception_fp_ieee_div_zero 0
		.amdhsa_exception_fp_ieee_overflow 0
		.amdhsa_exception_fp_ieee_underflow 0
		.amdhsa_exception_fp_ieee_inexact 0
		.amdhsa_exception_int_div_zero 0
	.end_amdhsa_kernel
	.section	.text._ZL20rocblas_trmvt_kernelILi512ELb0ELb0ELb1EPKPK19rocblas_complex_numIfEPKPS1_S6_EviT3_lllT4_lllT5_li,"axG",@progbits,_ZL20rocblas_trmvt_kernelILi512ELb0ELb0ELb1EPKPK19rocblas_complex_numIfEPKPS1_S6_EviT3_lllT4_lllT5_li,comdat
.Lfunc_end73:
	.size	_ZL20rocblas_trmvt_kernelILi512ELb0ELb0ELb1EPKPK19rocblas_complex_numIfEPKPS1_S6_EviT3_lllT4_lllT5_li, .Lfunc_end73-_ZL20rocblas_trmvt_kernelILi512ELb0ELb0ELb1EPKPK19rocblas_complex_numIfEPKPS1_S6_EviT3_lllT4_lllT5_li
                                        ; -- End function
	.set _ZL20rocblas_trmvt_kernelILi512ELb0ELb0ELb1EPKPK19rocblas_complex_numIfEPKPS1_S6_EviT3_lllT4_lllT5_li.num_vgpr, 30
	.set _ZL20rocblas_trmvt_kernelILi512ELb0ELb0ELb1EPKPK19rocblas_complex_numIfEPKPS1_S6_EviT3_lllT4_lllT5_li.num_agpr, 0
	.set _ZL20rocblas_trmvt_kernelILi512ELb0ELb0ELb1EPKPK19rocblas_complex_numIfEPKPS1_S6_EviT3_lllT4_lllT5_li.numbered_sgpr, 32
	.set _ZL20rocblas_trmvt_kernelILi512ELb0ELb0ELb1EPKPK19rocblas_complex_numIfEPKPS1_S6_EviT3_lllT4_lllT5_li.num_named_barrier, 0
	.set _ZL20rocblas_trmvt_kernelILi512ELb0ELb0ELb1EPKPK19rocblas_complex_numIfEPKPS1_S6_EviT3_lllT4_lllT5_li.private_seg_size, 0
	.set _ZL20rocblas_trmvt_kernelILi512ELb0ELb0ELb1EPKPK19rocblas_complex_numIfEPKPS1_S6_EviT3_lllT4_lllT5_li.uses_vcc, 1
	.set _ZL20rocblas_trmvt_kernelILi512ELb0ELb0ELb1EPKPK19rocblas_complex_numIfEPKPS1_S6_EviT3_lllT4_lllT5_li.uses_flat_scratch, 0
	.set _ZL20rocblas_trmvt_kernelILi512ELb0ELb0ELb1EPKPK19rocblas_complex_numIfEPKPS1_S6_EviT3_lllT4_lllT5_li.has_dyn_sized_stack, 0
	.set _ZL20rocblas_trmvt_kernelILi512ELb0ELb0ELb1EPKPK19rocblas_complex_numIfEPKPS1_S6_EviT3_lllT4_lllT5_li.has_recursion, 0
	.set _ZL20rocblas_trmvt_kernelILi512ELb0ELb0ELb1EPKPK19rocblas_complex_numIfEPKPS1_S6_EviT3_lllT4_lllT5_li.has_indirect_call, 0
	.section	.AMDGPU.csdata,"",@progbits
; Kernel info:
; codeLenInByte = 1204
; TotalNumSgprs: 34
; NumVgprs: 30
; ScratchSize: 0
; MemoryBound: 0
; FloatMode: 240
; IeeeMode: 1
; LDSByteSize: 256 bytes/workgroup (compile time only)
; SGPRBlocks: 0
; VGPRBlocks: 1
; NumSGPRsForWavesPerEU: 34
; NumVGPRsForWavesPerEU: 30
; NamedBarCnt: 0
; Occupancy: 16
; WaveLimiterHint : 1
; COMPUTE_PGM_RSRC2:SCRATCH_EN: 0
; COMPUTE_PGM_RSRC2:USER_SGPR: 2
; COMPUTE_PGM_RSRC2:TRAP_HANDLER: 0
; COMPUTE_PGM_RSRC2:TGID_X_EN: 1
; COMPUTE_PGM_RSRC2:TGID_Y_EN: 0
; COMPUTE_PGM_RSRC2:TGID_Z_EN: 1
; COMPUTE_PGM_RSRC2:TIDIG_COMP_CNT: 0
	.section	.text._ZL20rocblas_trmvt_kernelILi512ELb0ELb1ELb1EPKPK19rocblas_complex_numIfEPKPS1_S6_EviT3_lllT4_lllT5_li,"axG",@progbits,_ZL20rocblas_trmvt_kernelILi512ELb0ELb1ELb1EPKPK19rocblas_complex_numIfEPKPS1_S6_EviT3_lllT4_lllT5_li,comdat
	.globl	_ZL20rocblas_trmvt_kernelILi512ELb0ELb1ELb1EPKPK19rocblas_complex_numIfEPKPS1_S6_EviT3_lllT4_lllT5_li ; -- Begin function _ZL20rocblas_trmvt_kernelILi512ELb0ELb1ELb1EPKPK19rocblas_complex_numIfEPKPS1_S6_EviT3_lllT4_lllT5_li
	.p2align	8
	.type	_ZL20rocblas_trmvt_kernelILi512ELb0ELb1ELb1EPKPK19rocblas_complex_numIfEPKPS1_S6_EviT3_lllT4_lllT5_li,@function
_ZL20rocblas_trmvt_kernelILi512ELb0ELb1ELb1EPKPK19rocblas_complex_numIfEPKPS1_S6_EviT3_lllT4_lllT5_li: ; @_ZL20rocblas_trmvt_kernelILi512ELb0ELb1ELb1EPKPK19rocblas_complex_numIfEPKPS1_S6_EviT3_lllT4_lllT5_li
; %bb.0:
	s_load_b32 s24, s[0:1], 0x58
	s_bfe_u32 s2, ttmp6, 0x40014
	s_lshr_b32 s3, ttmp7, 16
	s_add_co_i32 s2, s2, 1
	s_bfe_u32 s5, ttmp6, 0x40008
	s_mul_i32 s4, s3, s2
	s_getreg_b32 s2, hwreg(HW_REG_IB_STS2, 6, 4)
	s_add_co_i32 s5, s5, s4
	s_cmp_eq_u32 s2, 0
	s_mov_b32 s17, 0
	s_cselect_b32 s16, s3, s5
	s_wait_kmcnt 0x0
	s_cmp_ge_u32 s16, s24
	s_cbranch_scc1 .LBB74_21
; %bb.1:
	s_clause 0x5
	s_load_b32 s25, s[0:1], 0x0
	s_load_b64 s[20:21], s[0:1], 0x38
	s_load_b128 s[8:11], s[0:1], 0x8
	s_load_b64 s[22:23], s[0:1], 0x18
	s_load_b128 s[12:15], s[0:1], 0x28
	s_load_b128 s[4:7], s[0:1], 0x48
	s_wait_xcnt 0x0
	s_bfe_u32 s0, ttmp6, 0x4000c
	s_and_b32 s1, ttmp6, 15
	s_add_co_i32 s0, s0, 1
	v_mbcnt_lo_u32_b32 v2, -1, 0
	s_mul_i32 s0, ttmp9, s0
	v_cmp_eq_u32_e32 vcc_lo, 0, v0
	s_add_co_i32 s1, s1, s0
	s_cmp_eq_u32 s2, 0
	v_cmp_gt_u32_e64 s2, 24, v2
	s_cselect_b32 s18, ttmp9, s1
	v_lshl_or_b32 v16, v2, 2, 64
	s_ashr_i32 s19, s18, 31
	v_cmp_gt_u32_e64 s1, 32, v0
	v_cndmask_b32_e64 v5, 0, 8, s2
	s_wait_kmcnt 0x0
	v_cmp_gt_i32_e64 s0, s25, v0
	v_mov_b32_e32 v3, 0
	v_cmp_gt_u32_e64 s2, 28, v2
	s_mul_u64 s[22:23], s[22:23], s[18:19]
	v_add_lshl_u32 v17, v5, v2, 2
	v_dual_cndmask_b32 v4, 0, v0, s0 :: v_dual_mov_b32 v1, v3
	v_and_b32_e32 v6, 31, v0
	v_cndmask_b32_e64 v7, 0, 4, s2
	v_cmp_gt_u32_e64 s2, 30, v2
	s_lshl_b64 s[10:11], s[10:11], 3
	v_mul_u64_e32 v[8:9], s[20:21], v[0:1]
	v_lshlrev_b32_e32 v1, 3, v6
	v_add_lshl_u32 v18, v7, v2, 2
	v_cndmask_b32_e64 v10, 0, 2, s2
	v_cmp_ne_u32_e64 s2, 31, v2
	s_mul_u64 s[26:27], s[20:21], s[18:19]
	s_lshl_b64 s[20:21], s[20:21], 12
	v_add_lshl_u32 v19, v10, v2, 2
	v_add_co_ci_u32_e64 v5, null, 0, v2, s2
	v_lshlrev_b32_e32 v2, 3, v4
	s_lshl_b64 s[2:3], s[22:23], 3
	s_delay_alu instid0(VALU_DEP_2)
	v_dual_lshrrev_b32 v7, 2, v0 :: v_dual_lshlrev_b32 v20, 2, v5
	s_add_nc_u64 s[2:3], s[2:3], s[10:11]
	s_lshl_b64 s[10:11], s[14:15], 3
	v_add_nc_u64_e32 v[4:5], s[2:3], v[2:3]
	v_cmp_eq_u32_e64 s2, 0, v6
	v_and_b32_e32 v2, 0x78, v7
	v_mov_b64_e32 v[6:7], 0
	v_cmp_gt_u32_e64 s3, 16, v0
	s_lshl_b64 s[22:23], s[18:19], 3
	v_or_b32_e32 v4, 4, v4
	s_add_nc_u64 s[14:15], s[4:5], s[22:23]
	s_lshl_b64 s[22:23], s[26:27], 3
	v_lshl_add_u64 v[8:9], v[8:9], 3, s[10:11]
	s_branch .LBB74_3
.LBB74_2:                               ;   in Loop: Header=BB74_3 Depth=1
	s_wait_xcnt 0x0
	s_or_b32 exec_lo, exec_lo, s4
	s_add_co_i32 s16, s16, 0x10000
	s_delay_alu instid0(SALU_CYCLE_1)
	s_cmp_lt_u32 s16, s24
	s_cbranch_scc0 .LBB74_21
.LBB74_3:                               ; =>This Loop Header: Depth=1
                                        ;     Child Loop BB74_15 Depth 2
	s_wait_dscnt 0x0
	v_mov_b32_e32 v10, s16
	s_clause 0x1
	global_load_b64 v[12:13], v10, s[8:9] scale_offset
	global_load_b64 v[14:15], v10, s[12:13] scale_offset
	s_wait_xcnt 0x0
	v_mov_b64_e32 v[10:11], 0
	s_and_saveexec_b32 s4, vcc_lo
	s_cbranch_execnz .LBB74_12
; %bb.4:                                ;   in Loop: Header=BB74_3 Depth=1
	s_or_b32 exec_lo, exec_lo, s4
	s_and_saveexec_b32 s5, s0
	s_cbranch_execnz .LBB74_13
.LBB74_5:                               ;   in Loop: Header=BB74_3 Depth=1
	s_or_b32 exec_lo, exec_lo, s5
	s_and_saveexec_b32 s4, s1
.LBB74_6:                               ;   in Loop: Header=BB74_3 Depth=1
	ds_store_b64 v1, v[6:7]
.LBB74_7:                               ;   in Loop: Header=BB74_3 Depth=1
	s_or_b32 exec_lo, exec_lo, s4
	s_wait_loadcnt 0x1
	ds_bpermute_b32 v12, v16, v10
	ds_bpermute_b32 v13, v16, v11
	s_wait_loadcnt_dscnt 0x0
	s_barrier_signal -1
	s_barrier_wait -1
	v_pk_add_f32 v[10:11], v[10:11], v[12:13]
	ds_bpermute_b32 v12, v17, v10
	ds_bpermute_b32 v13, v17, v11
	s_wait_dscnt 0x0
	v_pk_add_f32 v[10:11], v[10:11], v[12:13]
	ds_bpermute_b32 v12, v18, v10
	ds_bpermute_b32 v13, v18, v11
	s_wait_dscnt 0x0
	;; [unrolled: 4-line block ×3, first 2 shown]
	v_pk_add_f32 v[10:11], v[10:11], v[12:13]
	ds_bpermute_b32 v12, v20, v10
	ds_bpermute_b32 v13, v20, v11
	s_and_saveexec_b32 s4, s2
	s_cbranch_execz .LBB74_9
; %bb.8:                                ;   in Loop: Header=BB74_3 Depth=1
	s_wait_dscnt 0x0
	v_pk_add_f32 v[10:11], v[10:11], v[12:13]
	ds_store_b64 v2, v[10:11]
.LBB74_9:                               ;   in Loop: Header=BB74_3 Depth=1
	s_or_b32 exec_lo, exec_lo, s4
	v_mov_b64_e32 v[10:11], 0
	s_wait_dscnt 0x0
	s_barrier_signal -1
	s_barrier_wait -1
	s_and_saveexec_b32 s4, s3
	s_cbranch_execnz .LBB74_17
; %bb.10:                               ;   in Loop: Header=BB74_3 Depth=1
	s_or_b32 exec_lo, exec_lo, s4
	s_and_saveexec_b32 s4, s1
	s_cbranch_execnz .LBB74_18
.LBB74_11:                              ;   in Loop: Header=BB74_3 Depth=1
	s_or_b32 exec_lo, exec_lo, s4
	s_and_saveexec_b32 s4, vcc_lo
	s_cbranch_execz .LBB74_2
	s_branch .LBB74_19
.LBB74_12:                              ;   in Loop: Header=BB74_3 Depth=1
	s_wait_loadcnt 0x0
	v_add_nc_u64_e32 v[10:11], s[10:11], v[14:15]
	s_delay_alu instid0(VALU_DEP_1)
	v_add_nc_u64_e32 v[10:11], s[22:23], v[10:11]
	flat_load_b64 v[10:11], v[10:11]
	s_wait_loadcnt_dscnt 0x0
	s_wait_xcnt 0x0
	v_pk_add_f32 v[10:11], v[10:11], 0 op_sel_hi:[1,0]
	s_or_b32 exec_lo, exec_lo, s4
	s_and_saveexec_b32 s5, s0
	s_cbranch_execz .LBB74_5
.LBB74_13:                              ;   in Loop: Header=BB74_3 Depth=1
	s_wait_loadcnt 0x1
	v_add_nc_u64_e32 v[12:13], v[12:13], v[4:5]
	s_wait_loadcnt 0x0
	v_add_nc_u64_e32 v[14:15], v[14:15], v[8:9]
	v_mov_b32_e32 v21, v0
	s_mov_b32 s19, 0
	s_branch .LBB74_15
.LBB74_14:                              ;   in Loop: Header=BB74_15 Depth=2
	s_wait_xcnt 0x0
	s_or_b32 exec_lo, exec_lo, s26
	v_add_nc_u32_e32 v21, 0x200, v21
	v_add_nc_u64_e32 v[12:13], 0x1000, v[12:13]
	v_add_nc_u64_e32 v[14:15], s[20:21], v[14:15]
	s_delay_alu instid0(VALU_DEP_3) | instskip(SKIP_1) | instid1(SALU_CYCLE_1)
	v_cmp_le_i32_e64 s4, s25, v21
	s_or_b32 s19, s4, s19
	s_and_not1_b32 exec_lo, exec_lo, s19
	s_cbranch_execz .LBB74_20
.LBB74_15:                              ;   Parent Loop BB74_3 Depth=1
                                        ; =>  This Inner Loop Header: Depth=2
	s_mov_b32 s26, exec_lo
	s_delay_alu instid0(VALU_DEP_1)
	v_cmpx_gt_i32_e64 s18, v21
	s_cbranch_execz .LBB74_14
; %bb.16:                               ;   in Loop: Header=BB74_15 Depth=2
	flat_load_b64 v[22:23], v[12:13] offset:-4
	flat_load_b64 v[24:25], v[14:15]
	s_wait_loadcnt_dscnt 0x0
	v_pk_mul_f32 v[26:27], v[22:23], v[24:25] op_sel:[1,1] op_sel_hi:[1,0]
	s_delay_alu instid0(VALU_DEP_1) | instskip(SKIP_1) | instid1(VALU_DEP_2)
	v_pk_fma_f32 v[28:29], v[22:23], v[24:25], v[26:27] op_sel_hi:[0,1,1] neg_lo:[0,0,1] neg_hi:[0,0,1]
	v_pk_fma_f32 v[22:23], v[22:23], v[24:25], v[26:27]
	v_mov_b32_e32 v23, v29
	s_delay_alu instid0(VALU_DEP_1)
	v_pk_add_f32 v[10:11], v[10:11], v[22:23]
	s_branch .LBB74_14
.LBB74_17:                              ;   in Loop: Header=BB74_3 Depth=1
	ds_load_b64 v[10:11], v1
	s_or_b32 exec_lo, exec_lo, s4
	s_and_saveexec_b32 s4, s1
	s_cbranch_execz .LBB74_11
.LBB74_18:                              ;   in Loop: Header=BB74_3 Depth=1
	s_wait_dscnt 0x0
	ds_bpermute_b32 v12, v17, v10
	ds_bpermute_b32 v13, v17, v11
	s_wait_dscnt 0x0
	v_pk_add_f32 v[10:11], v[10:11], v[12:13]
	ds_bpermute_b32 v12, v18, v10
	ds_bpermute_b32 v13, v18, v11
	s_wait_dscnt 0x0
	v_pk_add_f32 v[10:11], v[10:11], v[12:13]
	;; [unrolled: 4-line block ×4, first 2 shown]
	s_or_b32 exec_lo, exec_lo, s4
	s_and_saveexec_b32 s4, vcc_lo
	s_cbranch_execz .LBB74_2
.LBB74_19:                              ;   in Loop: Header=BB74_3 Depth=1
	s_mul_u64 s[26:27], s[6:7], s[16:17]
	s_delay_alu instid0(SALU_CYCLE_1) | instskip(NEXT) | instid1(SALU_CYCLE_1)
	s_lshl_b64 s[26:27], s[26:27], 3
	s_add_nc_u64 s[26:27], s[14:15], s[26:27]
	s_wait_dscnt 0x0
	global_store_b64 v3, v[10:11], s[26:27]
	s_branch .LBB74_2
.LBB74_20:                              ;   in Loop: Header=BB74_3 Depth=1
	s_or_b32 exec_lo, exec_lo, s19
	s_delay_alu instid0(SALU_CYCLE_1)
	s_or_b32 exec_lo, exec_lo, s5
	s_and_saveexec_b32 s4, s1
	s_cbranch_execnz .LBB74_6
	s_branch .LBB74_7
.LBB74_21:
	s_endpgm
	.section	.rodata,"a",@progbits
	.p2align	6, 0x0
	.amdhsa_kernel _ZL20rocblas_trmvt_kernelILi512ELb0ELb1ELb1EPKPK19rocblas_complex_numIfEPKPS1_S6_EviT3_lllT4_lllT5_li
		.amdhsa_group_segment_fixed_size 256
		.amdhsa_private_segment_fixed_size 0
		.amdhsa_kernarg_size 92
		.amdhsa_user_sgpr_count 2
		.amdhsa_user_sgpr_dispatch_ptr 0
		.amdhsa_user_sgpr_queue_ptr 0
		.amdhsa_user_sgpr_kernarg_segment_ptr 1
		.amdhsa_user_sgpr_dispatch_id 0
		.amdhsa_user_sgpr_kernarg_preload_length 0
		.amdhsa_user_sgpr_kernarg_preload_offset 0
		.amdhsa_user_sgpr_private_segment_size 0
		.amdhsa_wavefront_size32 1
		.amdhsa_uses_dynamic_stack 0
		.amdhsa_enable_private_segment 0
		.amdhsa_system_sgpr_workgroup_id_x 1
		.amdhsa_system_sgpr_workgroup_id_y 0
		.amdhsa_system_sgpr_workgroup_id_z 1
		.amdhsa_system_sgpr_workgroup_info 0
		.amdhsa_system_vgpr_workitem_id 0
		.amdhsa_next_free_vgpr 30
		.amdhsa_next_free_sgpr 28
		.amdhsa_named_barrier_count 0
		.amdhsa_reserve_vcc 1
		.amdhsa_float_round_mode_32 0
		.amdhsa_float_round_mode_16_64 0
		.amdhsa_float_denorm_mode_32 3
		.amdhsa_float_denorm_mode_16_64 3
		.amdhsa_fp16_overflow 0
		.amdhsa_memory_ordered 1
		.amdhsa_forward_progress 1
		.amdhsa_inst_pref_size 10
		.amdhsa_round_robin_scheduling 0
		.amdhsa_exception_fp_ieee_invalid_op 0
		.amdhsa_exception_fp_denorm_src 0
		.amdhsa_exception_fp_ieee_div_zero 0
		.amdhsa_exception_fp_ieee_overflow 0
		.amdhsa_exception_fp_ieee_underflow 0
		.amdhsa_exception_fp_ieee_inexact 0
		.amdhsa_exception_int_div_zero 0
	.end_amdhsa_kernel
	.section	.text._ZL20rocblas_trmvt_kernelILi512ELb0ELb1ELb1EPKPK19rocblas_complex_numIfEPKPS1_S6_EviT3_lllT4_lllT5_li,"axG",@progbits,_ZL20rocblas_trmvt_kernelILi512ELb0ELb1ELb1EPKPK19rocblas_complex_numIfEPKPS1_S6_EviT3_lllT4_lllT5_li,comdat
.Lfunc_end74:
	.size	_ZL20rocblas_trmvt_kernelILi512ELb0ELb1ELb1EPKPK19rocblas_complex_numIfEPKPS1_S6_EviT3_lllT4_lllT5_li, .Lfunc_end74-_ZL20rocblas_trmvt_kernelILi512ELb0ELb1ELb1EPKPK19rocblas_complex_numIfEPKPS1_S6_EviT3_lllT4_lllT5_li
                                        ; -- End function
	.set _ZL20rocblas_trmvt_kernelILi512ELb0ELb1ELb1EPKPK19rocblas_complex_numIfEPKPS1_S6_EviT3_lllT4_lllT5_li.num_vgpr, 30
	.set _ZL20rocblas_trmvt_kernelILi512ELb0ELb1ELb1EPKPK19rocblas_complex_numIfEPKPS1_S6_EviT3_lllT4_lllT5_li.num_agpr, 0
	.set _ZL20rocblas_trmvt_kernelILi512ELb0ELb1ELb1EPKPK19rocblas_complex_numIfEPKPS1_S6_EviT3_lllT4_lllT5_li.numbered_sgpr, 28
	.set _ZL20rocblas_trmvt_kernelILi512ELb0ELb1ELb1EPKPK19rocblas_complex_numIfEPKPS1_S6_EviT3_lllT4_lllT5_li.num_named_barrier, 0
	.set _ZL20rocblas_trmvt_kernelILi512ELb0ELb1ELb1EPKPK19rocblas_complex_numIfEPKPS1_S6_EviT3_lllT4_lllT5_li.private_seg_size, 0
	.set _ZL20rocblas_trmvt_kernelILi512ELb0ELb1ELb1EPKPK19rocblas_complex_numIfEPKPS1_S6_EviT3_lllT4_lllT5_li.uses_vcc, 1
	.set _ZL20rocblas_trmvt_kernelILi512ELb0ELb1ELb1EPKPK19rocblas_complex_numIfEPKPS1_S6_EviT3_lllT4_lllT5_li.uses_flat_scratch, 0
	.set _ZL20rocblas_trmvt_kernelILi512ELb0ELb1ELb1EPKPK19rocblas_complex_numIfEPKPS1_S6_EviT3_lllT4_lllT5_li.has_dyn_sized_stack, 0
	.set _ZL20rocblas_trmvt_kernelILi512ELb0ELb1ELb1EPKPK19rocblas_complex_numIfEPKPS1_S6_EviT3_lllT4_lllT5_li.has_recursion, 0
	.set _ZL20rocblas_trmvt_kernelILi512ELb0ELb1ELb1EPKPK19rocblas_complex_numIfEPKPS1_S6_EviT3_lllT4_lllT5_li.has_indirect_call, 0
	.section	.AMDGPU.csdata,"",@progbits
; Kernel info:
; codeLenInByte = 1204
; TotalNumSgprs: 30
; NumVgprs: 30
; ScratchSize: 0
; MemoryBound: 0
; FloatMode: 240
; IeeeMode: 1
; LDSByteSize: 256 bytes/workgroup (compile time only)
; SGPRBlocks: 0
; VGPRBlocks: 1
; NumSGPRsForWavesPerEU: 30
; NumVGPRsForWavesPerEU: 30
; NamedBarCnt: 0
; Occupancy: 16
; WaveLimiterHint : 1
; COMPUTE_PGM_RSRC2:SCRATCH_EN: 0
; COMPUTE_PGM_RSRC2:USER_SGPR: 2
; COMPUTE_PGM_RSRC2:TRAP_HANDLER: 0
; COMPUTE_PGM_RSRC2:TGID_X_EN: 1
; COMPUTE_PGM_RSRC2:TGID_Y_EN: 0
; COMPUTE_PGM_RSRC2:TGID_Z_EN: 1
; COMPUTE_PGM_RSRC2:TIDIG_COMP_CNT: 0
	.section	.text._ZL20rocblas_trmvn_kernelILi64ELi16ELb0ELb0EPKPK19rocblas_complex_numIfEPKPS1_S6_EviT3_lllT4_lllT5_li,"axG",@progbits,_ZL20rocblas_trmvn_kernelILi64ELi16ELb0ELb0EPKPK19rocblas_complex_numIfEPKPS1_S6_EviT3_lllT4_lllT5_li,comdat
	.globl	_ZL20rocblas_trmvn_kernelILi64ELi16ELb0ELb0EPKPK19rocblas_complex_numIfEPKPS1_S6_EviT3_lllT4_lllT5_li ; -- Begin function _ZL20rocblas_trmvn_kernelILi64ELi16ELb0ELb0EPKPK19rocblas_complex_numIfEPKPS1_S6_EviT3_lllT4_lllT5_li
	.p2align	8
	.type	_ZL20rocblas_trmvn_kernelILi64ELi16ELb0ELb0EPKPK19rocblas_complex_numIfEPKPS1_S6_EviT3_lllT4_lllT5_li,@function
_ZL20rocblas_trmvn_kernelILi64ELi16ELb0ELb0EPKPK19rocblas_complex_numIfEPKPS1_S6_EviT3_lllT4_lllT5_li: ; @_ZL20rocblas_trmvn_kernelILi64ELi16ELb0ELb0EPKPK19rocblas_complex_numIfEPKPS1_S6_EviT3_lllT4_lllT5_li
; %bb.0:
	s_load_b32 s3, s[0:1], 0x58
	s_bfe_u32 s2, ttmp6, 0x40014
	s_lshr_b32 s4, ttmp7, 16
	s_add_co_i32 s2, s2, 1
	s_bfe_u32 s6, ttmp6, 0x40008
	s_mul_i32 s5, s4, s2
	s_getreg_b32 s2, hwreg(HW_REG_IB_STS2, 6, 4)
	s_add_co_i32 s6, s6, s5
	s_cmp_eq_u32 s2, 0
	s_mov_b32 s17, 0
	s_cselect_b32 s16, s4, s6
	s_wait_kmcnt 0x0
	s_cmp_ge_u32 s16, s3
	s_cbranch_scc1 .LBB75_14
; %bb.1:
	s_clause 0x2
	s_load_b32 s4, s[0:1], 0x6c
	s_load_b64 s[18:19], s[0:1], 0x18
	s_load_b64 s[22:23], s[0:1], 0x38
	s_bfe_u32 s5, ttmp6, 0x4000c
	s_and_b32 s6, ttmp6, 15
	s_add_co_i32 s5, s5, 1
	v_and_b32_e32 v10, 0x3ff, v0
	s_mul_i32 s5, ttmp9, s5
	v_bfe_u32 v2, v0, 10, 10
	s_add_co_i32 s8, s6, s5
	s_load_b128 s[12:15], s[0:1], 0x8
	v_lshlrev_b32_e32 v16, 3, v10
	s_delay_alu instid0(VALU_DEP_2)
	v_lshlrev_b32_e32 v17, 9, v2
	s_wait_kmcnt 0x0
	s_and_b32 s21, s4, 0xffff
	s_cmp_eq_u32 s2, 0
	s_load_b128 s[4:7], s[0:1], 0x28
	s_cselect_b32 s2, ttmp9, s8
	s_clause 0x1
	s_load_b32 s20, s[0:1], 0x0
	s_load_b128 s[8:11], s[0:1], 0x48
	v_lshl_add_u32 v0, s2, 6, v10
	v_mov_b32_e32 v3, 0
	v_mad_u32_u24 v19, v2, s21, v10
	v_mul_u32_u24_e32 v18, s21, v2
	v_cmp_eq_u32_e64 s2, 0, v2
	v_ashrrev_i32_e32 v1, 31, v0
	v_mul_u64_e32 v[8:9], s[18:19], v[2:3]
	v_mul_u64_e32 v[12:13], s[22:23], v[2:3]
	s_wait_xcnt 0x0
	v_cmp_gt_u32_e64 s1, 64, v19
	s_lshl_b64 s[14:15], s[14:15], 3
	v_mad_nc_u64_u32 v[4:5], v0, s18, v[0:1]
	v_mul_u64_e32 v[6:7], s[22:23], v[0:1]
	v_lshlrev_b64_e32 v[10:11], 3, v[0:1]
	s_wait_kmcnt 0x0
	s_lshl_b64 s[6:7], s[6:7], 3
	v_cmp_gt_i32_e64 s0, s20, v0
	v_cmp_gt_i32_e32 vcc_lo, s20, v2
	v_mad_u32 v3, v1, s18, v5
	v_lshl_add_u32 v1, v18, 3, v16
	s_and_b32 s21, s2, s0
	s_delay_alu instid0(VALU_DEP_2)
	v_mad_u32 v5, v0, s19, v3
	v_add_nc_u32_e32 v3, v16, v17
	s_lshl_b64 s[18:19], s[18:19], 7
	v_lshl_add_u64 v[14:15], v[8:9], 3, s[14:15]
	v_add_nc_u64_e32 v[8:9], s[8:9], v[10:11]
	v_lshl_add_u64 v[12:13], v[12:13], 3, s[6:7]
	s_lshl_b64 s[8:9], s[22:23], 7
	s_delay_alu instid0(VALU_DEP_3)
	v_add_nc_u64_e32 v[10:11], v[14:15], v[10:11]
	s_branch .LBB75_3
.LBB75_2:                               ;   in Loop: Header=BB75_3 Depth=1
	s_wait_xcnt 0x0
	s_or_b32 exec_lo, exec_lo, s2
	s_add_co_i32 s16, s16, 0x10000
	s_delay_alu instid0(SALU_CYCLE_1)
	s_cmp_lt_u32 s16, s3
	s_cbranch_scc0 .LBB75_14
.LBB75_3:                               ; =>This Loop Header: Depth=1
                                        ;     Child Loop BB75_8 Depth 2
	v_mov_b32_e32 v14, s16
	s_clause 0x1
	global_load_b64 v[18:19], v14, s[12:13] scale_offset
	global_load_b64 v[16:17], v14, s[4:5] scale_offset
	s_wait_xcnt 0x0
	v_mov_b64_e32 v[14:15], 0
	s_and_saveexec_b32 s2, s21
	s_cbranch_execz .LBB75_5
; %bb.4:                                ;   in Loop: Header=BB75_3 Depth=1
	s_wait_loadcnt 0x1
	v_add_nc_u64_e32 v[14:15], s[14:15], v[18:19]
	s_wait_loadcnt 0x0
	v_add_nc_u64_e32 v[20:21], s[6:7], v[16:17]
	s_delay_alu instid0(VALU_DEP_2) | instskip(NEXT) | instid1(VALU_DEP_2)
	v_lshl_add_u64 v[14:15], v[4:5], 3, v[14:15]
	v_lshl_add_u64 v[20:21], v[6:7], 3, v[20:21]
	flat_load_b64 v[22:23], v[14:15]
	flat_load_b64 v[24:25], v[20:21]
	s_wait_loadcnt_dscnt 0x0
	s_wait_xcnt 0x1
	v_pk_mul_f32 v[14:15], v[24:25], v[22:23] op_sel:[1,1] op_sel_hi:[0,1]
	s_wait_xcnt 0x0
	s_delay_alu instid0(VALU_DEP_1) | instskip(SKIP_1) | instid1(VALU_DEP_2)
	v_pk_fma_f32 v[20:21], v[24:25], v[22:23], v[14:15] op_sel_hi:[1,0,1]
	v_pk_fma_f32 v[14:15], v[24:25], v[22:23], v[14:15] neg_lo:[0,0,1] neg_hi:[0,0,1]
	v_mov_b32_e32 v15, v21
.LBB75_5:                               ;   in Loop: Header=BB75_3 Depth=1
	s_or_b32 exec_lo, exec_lo, s2
	s_and_saveexec_b32 s22, vcc_lo
	s_cbranch_execz .LBB75_11
; %bb.6:                                ;   in Loop: Header=BB75_3 Depth=1
	s_wait_loadcnt 0x0
	v_add_nc_u64_e32 v[16:17], v[16:17], v[12:13]
	v_add_nc_u64_e32 v[18:19], v[18:19], v[10:11]
	v_mov_b32_e32 v20, v2
	s_mov_b32 s23, 0
	s_branch .LBB75_8
.LBB75_7:                               ;   in Loop: Header=BB75_8 Depth=2
	s_wait_xcnt 0x0
	s_or_b32 exec_lo, exec_lo, s24
	v_add_nc_u32_e32 v20, 16, v20
	v_add_nc_u64_e32 v[16:17], s[8:9], v[16:17]
	v_add_nc_u64_e32 v[18:19], s[18:19], v[18:19]
	s_delay_alu instid0(VALU_DEP_3) | instskip(SKIP_1) | instid1(SALU_CYCLE_1)
	v_cmp_le_i32_e64 s2, s20, v20
	s_or_b32 s23, s2, s23
	s_and_not1_b32 exec_lo, exec_lo, s23
	s_cbranch_execz .LBB75_10
.LBB75_8:                               ;   Parent Loop BB75_3 Depth=1
                                        ; =>  This Inner Loop Header: Depth=2
	s_mov_b32 s24, exec_lo
	s_delay_alu instid0(VALU_DEP_1)
	v_cmpx_gt_i32_e64 v20, v0
	s_cbranch_execz .LBB75_7
; %bb.9:                                ;   in Loop: Header=BB75_8 Depth=2
	flat_load_b64 v[22:23], v[18:19]
	flat_load_b64 v[24:25], v[16:17]
	s_wait_loadcnt_dscnt 0x0
	v_pk_mul_f32 v[26:27], v[24:25], v[22:23] op_sel:[1,1] op_sel_hi:[0,1]
	s_delay_alu instid0(VALU_DEP_1) | instskip(SKIP_1) | instid1(VALU_DEP_2)
	v_pk_fma_f32 v[28:29], v[24:25], v[22:23], v[26:27] op_sel_hi:[1,0,1]
	v_pk_fma_f32 v[22:23], v[24:25], v[22:23], v[26:27] neg_lo:[0,0,1] neg_hi:[0,0,1]
	v_mov_b32_e32 v23, v29
	s_delay_alu instid0(VALU_DEP_1)
	v_pk_add_f32 v[14:15], v[14:15], v[22:23]
	s_branch .LBB75_7
.LBB75_10:                              ;   in Loop: Header=BB75_3 Depth=1
	s_or_b32 exec_lo, exec_lo, s23
.LBB75_11:                              ;   in Loop: Header=BB75_3 Depth=1
	s_delay_alu instid0(SALU_CYCLE_1)
	s_or_b32 exec_lo, exec_lo, s22
	ds_store_b64 v3, v[14:15]
	s_wait_loadcnt_dscnt 0x0
	s_barrier_signal -1
	s_barrier_wait -1
	s_and_saveexec_b32 s2, s1
	s_cbranch_execz .LBB75_2
; %bb.12:                               ;   in Loop: Header=BB75_3 Depth=1
	ds_load_2addr_stride64_b64 v[14:17], v1 offset1:1
	ds_load_2addr_stride64_b64 v[18:21], v1 offset0:2 offset1:3
	ds_load_2addr_stride64_b64 v[22:25], v1 offset0:4 offset1:5
	s_wait_dscnt 0x2
	v_pk_add_f32 v[26:27], v[14:15], v[16:17]
	ds_load_2addr_stride64_b64 v[14:17], v1 offset0:6 offset1:7
	s_wait_dscnt 0x2
	v_pk_add_f32 v[18:19], v[26:27], v[18:19]
	s_delay_alu instid0(VALU_DEP_1) | instskip(SKIP_3) | instid1(VALU_DEP_1)
	v_pk_add_f32 v[26:27], v[18:19], v[20:21]
	ds_load_2addr_stride64_b64 v[18:21], v1 offset0:8 offset1:9
	s_wait_dscnt 0x2
	v_pk_add_f32 v[22:23], v[26:27], v[22:23]
	v_pk_add_f32 v[26:27], v[22:23], v[24:25]
	ds_load_2addr_stride64_b64 v[22:25], v1 offset0:10 offset1:11
	s_wait_dscnt 0x2
	v_pk_add_f32 v[14:15], v[26:27], v[14:15]
	s_delay_alu instid0(VALU_DEP_1) | instskip(SKIP_1) | instid1(VALU_DEP_1)
	v_pk_add_f32 v[14:15], v[14:15], v[16:17]
	s_wait_dscnt 0x1
	v_pk_add_f32 v[18:19], v[14:15], v[18:19]
	ds_load_2addr_stride64_b64 v[14:17], v1 offset0:12 offset1:13
	v_pk_add_f32 v[18:19], v[18:19], v[20:21]
	s_wait_dscnt 0x1
	s_delay_alu instid0(VALU_DEP_1) | instskip(SKIP_3) | instid1(VALU_DEP_1)
	v_pk_add_f32 v[22:23], v[18:19], v[22:23]
	ds_load_2addr_stride64_b64 v[18:21], v1 offset0:14 offset1:15
	v_pk_add_f32 v[22:23], v[22:23], v[24:25]
	s_wait_dscnt 0x1
	v_pk_add_f32 v[14:15], v[22:23], v[14:15]
	s_delay_alu instid0(VALU_DEP_1) | instskip(SKIP_1) | instid1(VALU_DEP_1)
	v_pk_add_f32 v[14:15], v[14:15], v[16:17]
	s_wait_dscnt 0x0
	v_pk_add_f32 v[14:15], v[14:15], v[18:19]
	s_delay_alu instid0(VALU_DEP_1)
	v_pk_add_f32 v[14:15], v[14:15], v[20:21]
	ds_store_b64 v1, v[14:15]
	s_and_b32 exec_lo, exec_lo, s0
	s_cbranch_execz .LBB75_2
; %bb.13:                               ;   in Loop: Header=BB75_3 Depth=1
	s_mul_u64 s[22:23], s[10:11], s[16:17]
	s_delay_alu instid0(SALU_CYCLE_1)
	v_lshl_add_u64 v[16:17], s[22:23], 3, v[8:9]
	global_store_b64 v[16:17], v[14:15], off
	s_branch .LBB75_2
.LBB75_14:
	s_endpgm
	.section	.rodata,"a",@progbits
	.p2align	6, 0x0
	.amdhsa_kernel _ZL20rocblas_trmvn_kernelILi64ELi16ELb0ELb0EPKPK19rocblas_complex_numIfEPKPS1_S6_EviT3_lllT4_lllT5_li
		.amdhsa_group_segment_fixed_size 8192
		.amdhsa_private_segment_fixed_size 0
		.amdhsa_kernarg_size 352
		.amdhsa_user_sgpr_count 2
		.amdhsa_user_sgpr_dispatch_ptr 0
		.amdhsa_user_sgpr_queue_ptr 0
		.amdhsa_user_sgpr_kernarg_segment_ptr 1
		.amdhsa_user_sgpr_dispatch_id 0
		.amdhsa_user_sgpr_kernarg_preload_length 0
		.amdhsa_user_sgpr_kernarg_preload_offset 0
		.amdhsa_user_sgpr_private_segment_size 0
		.amdhsa_wavefront_size32 1
		.amdhsa_uses_dynamic_stack 0
		.amdhsa_enable_private_segment 0
		.amdhsa_system_sgpr_workgroup_id_x 1
		.amdhsa_system_sgpr_workgroup_id_y 0
		.amdhsa_system_sgpr_workgroup_id_z 1
		.amdhsa_system_sgpr_workgroup_info 0
		.amdhsa_system_vgpr_workitem_id 1
		.amdhsa_next_free_vgpr 30
		.amdhsa_next_free_sgpr 25
		.amdhsa_named_barrier_count 0
		.amdhsa_reserve_vcc 1
		.amdhsa_float_round_mode_32 0
		.amdhsa_float_round_mode_16_64 0
		.amdhsa_float_denorm_mode_32 3
		.amdhsa_float_denorm_mode_16_64 3
		.amdhsa_fp16_overflow 0
		.amdhsa_memory_ordered 1
		.amdhsa_forward_progress 1
		.amdhsa_inst_pref_size 9
		.amdhsa_round_robin_scheduling 0
		.amdhsa_exception_fp_ieee_invalid_op 0
		.amdhsa_exception_fp_denorm_src 0
		.amdhsa_exception_fp_ieee_div_zero 0
		.amdhsa_exception_fp_ieee_overflow 0
		.amdhsa_exception_fp_ieee_underflow 0
		.amdhsa_exception_fp_ieee_inexact 0
		.amdhsa_exception_int_div_zero 0
	.end_amdhsa_kernel
	.section	.text._ZL20rocblas_trmvn_kernelILi64ELi16ELb0ELb0EPKPK19rocblas_complex_numIfEPKPS1_S6_EviT3_lllT4_lllT5_li,"axG",@progbits,_ZL20rocblas_trmvn_kernelILi64ELi16ELb0ELb0EPKPK19rocblas_complex_numIfEPKPS1_S6_EviT3_lllT4_lllT5_li,comdat
.Lfunc_end75:
	.size	_ZL20rocblas_trmvn_kernelILi64ELi16ELb0ELb0EPKPK19rocblas_complex_numIfEPKPS1_S6_EviT3_lllT4_lllT5_li, .Lfunc_end75-_ZL20rocblas_trmvn_kernelILi64ELi16ELb0ELb0EPKPK19rocblas_complex_numIfEPKPS1_S6_EviT3_lllT4_lllT5_li
                                        ; -- End function
	.set _ZL20rocblas_trmvn_kernelILi64ELi16ELb0ELb0EPKPK19rocblas_complex_numIfEPKPS1_S6_EviT3_lllT4_lllT5_li.num_vgpr, 30
	.set _ZL20rocblas_trmvn_kernelILi64ELi16ELb0ELb0EPKPK19rocblas_complex_numIfEPKPS1_S6_EviT3_lllT4_lllT5_li.num_agpr, 0
	.set _ZL20rocblas_trmvn_kernelILi64ELi16ELb0ELb0EPKPK19rocblas_complex_numIfEPKPS1_S6_EviT3_lllT4_lllT5_li.numbered_sgpr, 25
	.set _ZL20rocblas_trmvn_kernelILi64ELi16ELb0ELb0EPKPK19rocblas_complex_numIfEPKPS1_S6_EviT3_lllT4_lllT5_li.num_named_barrier, 0
	.set _ZL20rocblas_trmvn_kernelILi64ELi16ELb0ELb0EPKPK19rocblas_complex_numIfEPKPS1_S6_EviT3_lllT4_lllT5_li.private_seg_size, 0
	.set _ZL20rocblas_trmvn_kernelILi64ELi16ELb0ELb0EPKPK19rocblas_complex_numIfEPKPS1_S6_EviT3_lllT4_lllT5_li.uses_vcc, 1
	.set _ZL20rocblas_trmvn_kernelILi64ELi16ELb0ELb0EPKPK19rocblas_complex_numIfEPKPS1_S6_EviT3_lllT4_lllT5_li.uses_flat_scratch, 0
	.set _ZL20rocblas_trmvn_kernelILi64ELi16ELb0ELb0EPKPK19rocblas_complex_numIfEPKPS1_S6_EviT3_lllT4_lllT5_li.has_dyn_sized_stack, 0
	.set _ZL20rocblas_trmvn_kernelILi64ELi16ELb0ELb0EPKPK19rocblas_complex_numIfEPKPS1_S6_EviT3_lllT4_lllT5_li.has_recursion, 0
	.set _ZL20rocblas_trmvn_kernelILi64ELi16ELb0ELb0EPKPK19rocblas_complex_numIfEPKPS1_S6_EviT3_lllT4_lllT5_li.has_indirect_call, 0
	.section	.AMDGPU.csdata,"",@progbits
; Kernel info:
; codeLenInByte = 1060
; TotalNumSgprs: 27
; NumVgprs: 30
; ScratchSize: 0
; MemoryBound: 0
; FloatMode: 240
; IeeeMode: 1
; LDSByteSize: 8192 bytes/workgroup (compile time only)
; SGPRBlocks: 0
; VGPRBlocks: 1
; NumSGPRsForWavesPerEU: 27
; NumVGPRsForWavesPerEU: 30
; NamedBarCnt: 0
; Occupancy: 16
; WaveLimiterHint : 1
; COMPUTE_PGM_RSRC2:SCRATCH_EN: 0
; COMPUTE_PGM_RSRC2:USER_SGPR: 2
; COMPUTE_PGM_RSRC2:TRAP_HANDLER: 0
; COMPUTE_PGM_RSRC2:TGID_X_EN: 1
; COMPUTE_PGM_RSRC2:TGID_Y_EN: 0
; COMPUTE_PGM_RSRC2:TGID_Z_EN: 1
; COMPUTE_PGM_RSRC2:TIDIG_COMP_CNT: 1
	.section	.text._ZL20rocblas_trmvt_kernelILi512ELb0ELb0ELb0EPKPK19rocblas_complex_numIfEPKPS1_S6_EviT3_lllT4_lllT5_li,"axG",@progbits,_ZL20rocblas_trmvt_kernelILi512ELb0ELb0ELb0EPKPK19rocblas_complex_numIfEPKPS1_S6_EviT3_lllT4_lllT5_li,comdat
	.globl	_ZL20rocblas_trmvt_kernelILi512ELb0ELb0ELb0EPKPK19rocblas_complex_numIfEPKPS1_S6_EviT3_lllT4_lllT5_li ; -- Begin function _ZL20rocblas_trmvt_kernelILi512ELb0ELb0ELb0EPKPK19rocblas_complex_numIfEPKPS1_S6_EviT3_lllT4_lllT5_li
	.p2align	8
	.type	_ZL20rocblas_trmvt_kernelILi512ELb0ELb0ELb0EPKPK19rocblas_complex_numIfEPKPS1_S6_EviT3_lllT4_lllT5_li,@function
_ZL20rocblas_trmvt_kernelILi512ELb0ELb0ELb0EPKPK19rocblas_complex_numIfEPKPS1_S6_EviT3_lllT4_lllT5_li: ; @_ZL20rocblas_trmvt_kernelILi512ELb0ELb0ELb0EPKPK19rocblas_complex_numIfEPKPS1_S6_EviT3_lllT4_lllT5_li
; %bb.0:
	s_load_b32 s28, s[0:1], 0x58
	s_bfe_u32 s2, ttmp6, 0x40014
	s_lshr_b32 s4, ttmp7, 16
	s_add_co_i32 s2, s2, 1
	s_bfe_u32 s5, ttmp6, 0x40008
	s_mul_i32 s2, s4, s2
	s_getreg_b32 s3, hwreg(HW_REG_IB_STS2, 6, 4)
	s_add_co_i32 s5, s5, s2
	s_cmp_eq_u32 s3, 0
	s_mov_b32 s17, 0
	s_cselect_b32 s16, s4, s5
	s_wait_kmcnt 0x0
	s_cmp_ge_u32 s16, s28
	s_cbranch_scc1 .LBB76_21
; %bb.1:
	s_clause 0x5
	s_load_b64 s[24:25], s[0:1], 0x38
	s_load_b32 s29, s[0:1], 0x0
	s_load_b128 s[8:11], s[0:1], 0x8
	s_load_b64 s[20:21], s[0:1], 0x18
	s_load_b128 s[12:15], s[0:1], 0x28
	s_load_b128 s[4:7], s[0:1], 0x48
	v_dual_mov_b32 v3, 0 :: v_dual_bitop2_b32 v2, 31, v0 bitop3:0x40
	v_mbcnt_lo_u32_b32 v8, -1, 0
	s_bfe_u32 s2, ttmp6, 0x4000c
	s_delay_alu instid0(VALU_DEP_2)
	v_dual_lshrrev_b32 v9, 2, v0 :: v_dual_mov_b32 v1, v3
	s_add_co_i32 s2, s2, 1
	s_and_b32 s18, ttmp6, 15
	s_mul_i32 s19, ttmp9, s2
	v_cmp_gt_u32_e64 s2, 24, v8
	s_add_co_i32 s18, s18, s19
	s_cmp_eq_u32 s3, 0
	v_mov_b64_e32 v[4:5], 0
	s_cselect_b32 s18, ttmp9, s18
	s_wait_kmcnt 0x0
	v_mul_u64_e32 v[6:7], s[24:25], v[0:1]
	v_cndmask_b32_e64 v10, 0, 8, s2
	v_cmp_gt_u32_e64 s2, 28, v8
	v_cmp_gt_i32_e64 s3, s29, v0
	s_lshl_b64 s[14:15], s[14:15], 3
	s_ashr_i32 s19, s18, 31
	v_cmp_gt_u32_e64 s0, 32, v0
	v_cndmask_b32_e64 v11, 0, 4, s2
	v_cmp_gt_u32_e64 s2, 30, v8
	v_cmp_gt_u32_e64 s1, 16, v0
	v_lshl_or_b32 v14, v8, 2, 64
	v_and_b32_e32 v15, 0x78, v9
	v_add_lshl_u32 v16, v10, v8, 2
	v_cndmask_b32_e64 v12, 0, 2, s2
	v_cmp_ne_u32_e64 s2, 31, v8
	v_add_lshl_u32 v17, v11, v8, 2
	s_lshl_b64 s[22:23], s[18:19], 3
	s_mul_u64 s[26:27], s[24:25], s[18:19]
	v_add_lshl_u32 v18, v12, v8, 2
	v_add_co_ci_u32_e64 v13, null, 0, v8, s2
	v_lshlrev_b32_e32 v1, 3, v2
	v_cmp_eq_u32_e64 s2, 0, v2
	s_delay_alu instid0(VALU_DEP_3) | instskip(SKIP_3) | instid1(VALU_DEP_1)
	v_dual_cndmask_b32 v2, 0, v0, s3 :: v_dual_lshlrev_b32 v19, 2, v13
	s_mul_u64 s[20:21], s[20:21], s[18:19]
	s_add_nc_u64 s[22:23], s[4:5], s[22:23]
	s_lshl_b64 s[24:25], s[24:25], 12
	v_lshlrev_b32_e32 v2, 3, v2
	s_lshl_b64 s[10:11], s[10:11], 3
	s_lshl_b64 s[26:27], s[26:27], 3
	v_cmp_eq_u32_e32 vcc_lo, 0, v0
	v_lshl_add_u64 v[6:7], v[6:7], 3, s[14:15]
	s_branch .LBB76_3
.LBB76_2:                               ;   in Loop: Header=BB76_3 Depth=1
	s_wait_xcnt 0x0
	s_or_b32 exec_lo, exec_lo, s4
	s_add_co_i32 s16, s16, 0x10000
	s_delay_alu instid0(SALU_CYCLE_1)
	s_cmp_lt_u32 s16, s28
	s_cbranch_scc0 .LBB76_21
.LBB76_3:                               ; =>This Loop Header: Depth=1
                                        ;     Child Loop BB76_15 Depth 2
	v_mov_b32_e32 v10, s16
	s_wait_dscnt 0x0
	s_clause 0x1
	global_load_b64 v[8:9], v10, s[8:9] scale_offset
	global_load_b64 v[12:13], v10, s[12:13] scale_offset
	s_wait_loadcnt 0x1
	v_add_nc_u64_e32 v[8:9], s[10:11], v[8:9]
	s_wait_xcnt 0x0
	s_delay_alu instid0(VALU_DEP_1) | instskip(SKIP_1) | instid1(VALU_DEP_2)
	v_add_nc_u64_e32 v[10:11], v[8:9], v[2:3]
	v_mov_b64_e32 v[8:9], 0
	v_lshl_add_u64 v[10:11], s[20:21], 3, v[10:11]
	s_and_saveexec_b32 s4, vcc_lo
	s_cbranch_execnz .LBB76_12
; %bb.4:                                ;   in Loop: Header=BB76_3 Depth=1
	s_or_b32 exec_lo, exec_lo, s4
	s_and_saveexec_b32 s5, s3
	s_cbranch_execnz .LBB76_13
.LBB76_5:                               ;   in Loop: Header=BB76_3 Depth=1
	s_or_b32 exec_lo, exec_lo, s5
	s_and_saveexec_b32 s4, s0
.LBB76_6:                               ;   in Loop: Header=BB76_3 Depth=1
	ds_store_b64 v1, v[4:5]
.LBB76_7:                               ;   in Loop: Header=BB76_3 Depth=1
	s_or_b32 exec_lo, exec_lo, s4
	ds_bpermute_b32 v10, v14, v8
	ds_bpermute_b32 v11, v14, v9
	s_wait_loadcnt_dscnt 0x0
	s_barrier_signal -1
	s_barrier_wait -1
	v_pk_add_f32 v[8:9], v[8:9], v[10:11]
	ds_bpermute_b32 v10, v16, v8
	ds_bpermute_b32 v11, v16, v9
	s_wait_dscnt 0x0
	v_pk_add_f32 v[8:9], v[8:9], v[10:11]
	ds_bpermute_b32 v10, v17, v8
	ds_bpermute_b32 v11, v17, v9
	s_wait_dscnt 0x0
	;; [unrolled: 4-line block ×3, first 2 shown]
	v_pk_add_f32 v[8:9], v[8:9], v[10:11]
	ds_bpermute_b32 v10, v19, v8
	ds_bpermute_b32 v11, v19, v9
	s_and_saveexec_b32 s4, s2
	s_cbranch_execz .LBB76_9
; %bb.8:                                ;   in Loop: Header=BB76_3 Depth=1
	s_wait_dscnt 0x0
	v_pk_add_f32 v[8:9], v[8:9], v[10:11]
	ds_store_b64 v15, v[8:9]
.LBB76_9:                               ;   in Loop: Header=BB76_3 Depth=1
	s_or_b32 exec_lo, exec_lo, s4
	v_mov_b64_e32 v[8:9], 0
	s_wait_dscnt 0x0
	s_barrier_signal -1
	s_barrier_wait -1
	s_and_saveexec_b32 s4, s1
	s_cbranch_execnz .LBB76_17
; %bb.10:                               ;   in Loop: Header=BB76_3 Depth=1
	s_or_b32 exec_lo, exec_lo, s4
	s_and_saveexec_b32 s4, s0
	s_cbranch_execnz .LBB76_18
.LBB76_11:                              ;   in Loop: Header=BB76_3 Depth=1
	s_or_b32 exec_lo, exec_lo, s4
	s_and_saveexec_b32 s4, vcc_lo
	s_cbranch_execz .LBB76_2
	s_branch .LBB76_19
.LBB76_12:                              ;   in Loop: Header=BB76_3 Depth=1
	s_wait_loadcnt 0x0
	v_add_nc_u64_e32 v[8:9], s[14:15], v[12:13]
	v_lshl_add_u64 v[20:21], s[18:19], 3, v[10:11]
	s_delay_alu instid0(VALU_DEP_2)
	v_add_nc_u64_e32 v[8:9], s[26:27], v[8:9]
	flat_load_b64 v[22:23], v[20:21]
	flat_load_b64 v[24:25], v[8:9]
	s_wait_loadcnt_dscnt 0x0
	s_wait_xcnt 0x0
	v_pk_mul_f32 v[8:9], v[24:25], v[22:23] op_sel:[1,1] op_sel_hi:[0,1]
	s_delay_alu instid0(VALU_DEP_1) | instskip(SKIP_1) | instid1(VALU_DEP_2)
	v_pk_fma_f32 v[20:21], v[24:25], v[22:23], v[8:9] op_sel_hi:[1,0,1]
	v_pk_fma_f32 v[8:9], v[24:25], v[22:23], v[8:9] neg_lo:[0,0,1] neg_hi:[0,0,1]
	v_mov_b32_e32 v9, v21
	s_delay_alu instid0(VALU_DEP_1)
	v_pk_add_f32 v[8:9], v[8:9], 0 op_sel_hi:[1,0]
	s_or_b32 exec_lo, exec_lo, s4
	s_and_saveexec_b32 s5, s3
	s_cbranch_execz .LBB76_5
.LBB76_13:                              ;   in Loop: Header=BB76_3 Depth=1
	s_wait_loadcnt 0x0
	v_add_nc_u64_e32 v[12:13], v[12:13], v[6:7]
	v_mov_b32_e32 v20, v0
	s_mov_b32 s30, 0
	s_branch .LBB76_15
.LBB76_14:                              ;   in Loop: Header=BB76_15 Depth=2
	s_wait_xcnt 0x0
	s_or_b32 exec_lo, exec_lo, s31
	v_add_nc_u32_e32 v20, 0x200, v20
	v_add_nc_u64_e32 v[10:11], 0x1000, v[10:11]
	v_add_nc_u64_e32 v[12:13], s[24:25], v[12:13]
	s_delay_alu instid0(VALU_DEP_3) | instskip(SKIP_1) | instid1(SALU_CYCLE_1)
	v_cmp_le_i32_e64 s4, s29, v20
	s_or_b32 s30, s4, s30
	s_and_not1_b32 exec_lo, exec_lo, s30
	s_cbranch_execz .LBB76_20
.LBB76_15:                              ;   Parent Loop BB76_3 Depth=1
                                        ; =>  This Inner Loop Header: Depth=2
	s_mov_b32 s31, exec_lo
	s_delay_alu instid0(VALU_DEP_1)
	v_cmpx_gt_i32_e64 s18, v20
	s_cbranch_execz .LBB76_14
; %bb.16:                               ;   in Loop: Header=BB76_15 Depth=2
	flat_load_b64 v[22:23], v[10:11]
	flat_load_b64 v[24:25], v[12:13]
	s_wait_loadcnt_dscnt 0x0
	v_pk_mul_f32 v[26:27], v[24:25], v[22:23] op_sel:[1,1] op_sel_hi:[0,1]
	s_delay_alu instid0(VALU_DEP_1) | instskip(SKIP_1) | instid1(VALU_DEP_2)
	v_pk_fma_f32 v[28:29], v[24:25], v[22:23], v[26:27] op_sel_hi:[1,0,1]
	v_pk_fma_f32 v[22:23], v[24:25], v[22:23], v[26:27] neg_lo:[0,0,1] neg_hi:[0,0,1]
	v_mov_b32_e32 v23, v29
	s_delay_alu instid0(VALU_DEP_1)
	v_pk_add_f32 v[8:9], v[8:9], v[22:23]
	s_branch .LBB76_14
.LBB76_17:                              ;   in Loop: Header=BB76_3 Depth=1
	ds_load_b64 v[8:9], v1
	s_or_b32 exec_lo, exec_lo, s4
	s_and_saveexec_b32 s4, s0
	s_cbranch_execz .LBB76_11
.LBB76_18:                              ;   in Loop: Header=BB76_3 Depth=1
	s_wait_dscnt 0x0
	ds_bpermute_b32 v10, v16, v8
	ds_bpermute_b32 v11, v16, v9
	s_wait_dscnt 0x0
	v_pk_add_f32 v[8:9], v[8:9], v[10:11]
	ds_bpermute_b32 v10, v17, v8
	ds_bpermute_b32 v11, v17, v9
	s_wait_dscnt 0x0
	v_pk_add_f32 v[8:9], v[8:9], v[10:11]
	ds_bpermute_b32 v10, v18, v8
	ds_bpermute_b32 v11, v18, v9
	s_wait_dscnt 0x0
	v_pk_add_f32 v[8:9], v[8:9], v[10:11]
	ds_bpermute_b32 v10, v19, v8
	ds_bpermute_b32 v11, v19, v9
	s_wait_dscnt 0x0
	v_pk_add_f32 v[8:9], v[8:9], v[10:11]
	s_or_b32 exec_lo, exec_lo, s4
	s_and_saveexec_b32 s4, vcc_lo
	s_cbranch_execz .LBB76_2
.LBB76_19:                              ;   in Loop: Header=BB76_3 Depth=1
	s_mul_u64 s[30:31], s[6:7], s[16:17]
	s_delay_alu instid0(SALU_CYCLE_1) | instskip(NEXT) | instid1(SALU_CYCLE_1)
	s_lshl_b64 s[30:31], s[30:31], 3
	s_add_nc_u64 s[30:31], s[22:23], s[30:31]
	s_wait_dscnt 0x0
	global_store_b64 v3, v[8:9], s[30:31]
	s_branch .LBB76_2
.LBB76_20:                              ;   in Loop: Header=BB76_3 Depth=1
	s_or_b32 exec_lo, exec_lo, s30
	s_delay_alu instid0(SALU_CYCLE_1)
	s_or_b32 exec_lo, exec_lo, s5
	s_and_saveexec_b32 s4, s0
	s_cbranch_execnz .LBB76_6
	s_branch .LBB76_7
.LBB76_21:
	s_endpgm
	.section	.rodata,"a",@progbits
	.p2align	6, 0x0
	.amdhsa_kernel _ZL20rocblas_trmvt_kernelILi512ELb0ELb0ELb0EPKPK19rocblas_complex_numIfEPKPS1_S6_EviT3_lllT4_lllT5_li
		.amdhsa_group_segment_fixed_size 256
		.amdhsa_private_segment_fixed_size 0
		.amdhsa_kernarg_size 92
		.amdhsa_user_sgpr_count 2
		.amdhsa_user_sgpr_dispatch_ptr 0
		.amdhsa_user_sgpr_queue_ptr 0
		.amdhsa_user_sgpr_kernarg_segment_ptr 1
		.amdhsa_user_sgpr_dispatch_id 0
		.amdhsa_user_sgpr_kernarg_preload_length 0
		.amdhsa_user_sgpr_kernarg_preload_offset 0
		.amdhsa_user_sgpr_private_segment_size 0
		.amdhsa_wavefront_size32 1
		.amdhsa_uses_dynamic_stack 0
		.amdhsa_enable_private_segment 0
		.amdhsa_system_sgpr_workgroup_id_x 1
		.amdhsa_system_sgpr_workgroup_id_y 0
		.amdhsa_system_sgpr_workgroup_id_z 1
		.amdhsa_system_sgpr_workgroup_info 0
		.amdhsa_system_vgpr_workitem_id 0
		.amdhsa_next_free_vgpr 30
		.amdhsa_next_free_sgpr 32
		.amdhsa_named_barrier_count 0
		.amdhsa_reserve_vcc 1
		.amdhsa_float_round_mode_32 0
		.amdhsa_float_round_mode_16_64 0
		.amdhsa_float_denorm_mode_32 3
		.amdhsa_float_denorm_mode_16_64 3
		.amdhsa_fp16_overflow 0
		.amdhsa_memory_ordered 1
		.amdhsa_forward_progress 1
		.amdhsa_inst_pref_size 10
		.amdhsa_round_robin_scheduling 0
		.amdhsa_exception_fp_ieee_invalid_op 0
		.amdhsa_exception_fp_denorm_src 0
		.amdhsa_exception_fp_ieee_div_zero 0
		.amdhsa_exception_fp_ieee_overflow 0
		.amdhsa_exception_fp_ieee_underflow 0
		.amdhsa_exception_fp_ieee_inexact 0
		.amdhsa_exception_int_div_zero 0
	.end_amdhsa_kernel
	.section	.text._ZL20rocblas_trmvt_kernelILi512ELb0ELb0ELb0EPKPK19rocblas_complex_numIfEPKPS1_S6_EviT3_lllT4_lllT5_li,"axG",@progbits,_ZL20rocblas_trmvt_kernelILi512ELb0ELb0ELb0EPKPK19rocblas_complex_numIfEPKPS1_S6_EviT3_lllT4_lllT5_li,comdat
.Lfunc_end76:
	.size	_ZL20rocblas_trmvt_kernelILi512ELb0ELb0ELb0EPKPK19rocblas_complex_numIfEPKPS1_S6_EviT3_lllT4_lllT5_li, .Lfunc_end76-_ZL20rocblas_trmvt_kernelILi512ELb0ELb0ELb0EPKPK19rocblas_complex_numIfEPKPS1_S6_EviT3_lllT4_lllT5_li
                                        ; -- End function
	.set _ZL20rocblas_trmvt_kernelILi512ELb0ELb0ELb0EPKPK19rocblas_complex_numIfEPKPS1_S6_EviT3_lllT4_lllT5_li.num_vgpr, 30
	.set _ZL20rocblas_trmvt_kernelILi512ELb0ELb0ELb0EPKPK19rocblas_complex_numIfEPKPS1_S6_EviT3_lllT4_lllT5_li.num_agpr, 0
	.set _ZL20rocblas_trmvt_kernelILi512ELb0ELb0ELb0EPKPK19rocblas_complex_numIfEPKPS1_S6_EviT3_lllT4_lllT5_li.numbered_sgpr, 32
	.set _ZL20rocblas_trmvt_kernelILi512ELb0ELb0ELb0EPKPK19rocblas_complex_numIfEPKPS1_S6_EviT3_lllT4_lllT5_li.num_named_barrier, 0
	.set _ZL20rocblas_trmvt_kernelILi512ELb0ELb0ELb0EPKPK19rocblas_complex_numIfEPKPS1_S6_EviT3_lllT4_lllT5_li.private_seg_size, 0
	.set _ZL20rocblas_trmvt_kernelILi512ELb0ELb0ELb0EPKPK19rocblas_complex_numIfEPKPS1_S6_EviT3_lllT4_lllT5_li.uses_vcc, 1
	.set _ZL20rocblas_trmvt_kernelILi512ELb0ELb0ELb0EPKPK19rocblas_complex_numIfEPKPS1_S6_EviT3_lllT4_lllT5_li.uses_flat_scratch, 0
	.set _ZL20rocblas_trmvt_kernelILi512ELb0ELb0ELb0EPKPK19rocblas_complex_numIfEPKPS1_S6_EviT3_lllT4_lllT5_li.has_dyn_sized_stack, 0
	.set _ZL20rocblas_trmvt_kernelILi512ELb0ELb0ELb0EPKPK19rocblas_complex_numIfEPKPS1_S6_EviT3_lllT4_lllT5_li.has_recursion, 0
	.set _ZL20rocblas_trmvt_kernelILi512ELb0ELb0ELb0EPKPK19rocblas_complex_numIfEPKPS1_S6_EviT3_lllT4_lllT5_li.has_indirect_call, 0
	.section	.AMDGPU.csdata,"",@progbits
; Kernel info:
; codeLenInByte = 1260
; TotalNumSgprs: 34
; NumVgprs: 30
; ScratchSize: 0
; MemoryBound: 0
; FloatMode: 240
; IeeeMode: 1
; LDSByteSize: 256 bytes/workgroup (compile time only)
; SGPRBlocks: 0
; VGPRBlocks: 1
; NumSGPRsForWavesPerEU: 34
; NumVGPRsForWavesPerEU: 30
; NamedBarCnt: 0
; Occupancy: 16
; WaveLimiterHint : 1
; COMPUTE_PGM_RSRC2:SCRATCH_EN: 0
; COMPUTE_PGM_RSRC2:USER_SGPR: 2
; COMPUTE_PGM_RSRC2:TRAP_HANDLER: 0
; COMPUTE_PGM_RSRC2:TGID_X_EN: 1
; COMPUTE_PGM_RSRC2:TGID_Y_EN: 0
; COMPUTE_PGM_RSRC2:TGID_Z_EN: 1
; COMPUTE_PGM_RSRC2:TIDIG_COMP_CNT: 0
	.section	.text._ZL20rocblas_trmvt_kernelILi512ELb0ELb1ELb0EPKPK19rocblas_complex_numIfEPKPS1_S6_EviT3_lllT4_lllT5_li,"axG",@progbits,_ZL20rocblas_trmvt_kernelILi512ELb0ELb1ELb0EPKPK19rocblas_complex_numIfEPKPS1_S6_EviT3_lllT4_lllT5_li,comdat
	.globl	_ZL20rocblas_trmvt_kernelILi512ELb0ELb1ELb0EPKPK19rocblas_complex_numIfEPKPS1_S6_EviT3_lllT4_lllT5_li ; -- Begin function _ZL20rocblas_trmvt_kernelILi512ELb0ELb1ELb0EPKPK19rocblas_complex_numIfEPKPS1_S6_EviT3_lllT4_lllT5_li
	.p2align	8
	.type	_ZL20rocblas_trmvt_kernelILi512ELb0ELb1ELb0EPKPK19rocblas_complex_numIfEPKPS1_S6_EviT3_lllT4_lllT5_li,@function
_ZL20rocblas_trmvt_kernelILi512ELb0ELb1ELb0EPKPK19rocblas_complex_numIfEPKPS1_S6_EviT3_lllT4_lllT5_li: ; @_ZL20rocblas_trmvt_kernelILi512ELb0ELb1ELb0EPKPK19rocblas_complex_numIfEPKPS1_S6_EviT3_lllT4_lllT5_li
; %bb.0:
	s_load_b32 s28, s[0:1], 0x58
	s_bfe_u32 s2, ttmp6, 0x40014
	s_lshr_b32 s3, ttmp7, 16
	s_add_co_i32 s2, s2, 1
	s_bfe_u32 s5, ttmp6, 0x40008
	s_mul_i32 s4, s3, s2
	s_getreg_b32 s2, hwreg(HW_REG_IB_STS2, 6, 4)
	s_add_co_i32 s5, s5, s4
	s_cmp_eq_u32 s2, 0
	s_mov_b32 s17, 0
	s_cselect_b32 s16, s3, s5
	s_wait_kmcnt 0x0
	s_cmp_ge_u32 s16, s28
	s_cbranch_scc1 .LBB77_21
; %bb.1:
	s_clause 0x5
	s_load_b32 s29, s[0:1], 0x0
	s_load_b64 s[20:21], s[0:1], 0x18
	s_load_b64 s[24:25], s[0:1], 0x38
	s_load_b128 s[8:11], s[0:1], 0x8
	s_load_b128 s[12:15], s[0:1], 0x28
	s_load_b128 s[4:7], s[0:1], 0x48
	s_wait_xcnt 0x0
	s_bfe_u32 s0, ttmp6, 0x4000c
	s_and_b32 s1, ttmp6, 15
	s_add_co_i32 s0, s0, 1
	v_mbcnt_lo_u32_b32 v6, -1, 0
	s_mul_i32 s0, ttmp9, s0
	v_cmp_eq_u32_e32 vcc_lo, 0, v0
	s_add_co_i32 s1, s1, s0
	s_cmp_eq_u32 s2, 0
	v_cmp_gt_u32_e64 s2, 30, v6
	s_cselect_b32 s18, ttmp9, s1
	v_cmp_gt_u32_e64 s1, 24, v6
	s_ashr_i32 s19, s18, 31
	v_lshl_or_b32 v16, v6, 2, 64
	v_cndmask_b32_e64 v11, 0, 2, s2
	s_wait_kmcnt 0x0
	v_cmp_gt_i32_e64 s0, s29, v0
	v_mov_b32_e32 v3, 0
	v_cndmask_b32_e64 v2, 0, 8, s1
	v_cmp_gt_u32_e64 s1, 28, v6
	v_cmp_ne_u32_e64 s2, 31, v6
	s_delay_alu instid0(VALU_DEP_4)
	v_dual_cndmask_b32 v10, 0, v0, s0 :: v_dual_mov_b32 v1, v3
	v_and_b32_e32 v7, 31, v0
	s_mul_u64 s[20:21], s[20:21], s[18:19]
	v_cndmask_b32_e64 v4, 0, 4, s1
	v_add_lshl_u32 v17, v2, v6, 2
	v_mul_u64_e32 v[8:9], s[24:25], v[0:1]
	v_dual_lshlrev_b32 v1, 3, v7 :: v_dual_lshlrev_b32 v2, 3, v10
	s_lshl_b64 s[22:23], s[20:21], 3
	s_lshl_b64 s[10:11], s[10:11], 3
	v_add_co_ci_u32_e64 v12, null, 0, v6, s2
	s_add_nc_u64 s[2:3], s[22:23], s[10:11]
	v_add_lshl_u32 v18, v4, v6, 2
	v_add_nc_u64_e32 v[4:5], s[2:3], v[2:3]
	v_dual_lshrrev_b32 v13, 2, v0 :: v_dual_lshlrev_b32 v2, 3, v10
	v_add_lshl_u32 v19, v11, v6, 2
	v_cmp_eq_u32_e64 s2, 0, v7
	s_lshl_b64 s[14:15], s[14:15], 3
	v_mov_b64_e32 v[6:7], 0
	v_cmp_gt_u32_e64 s1, 32, v0
	v_lshlrev_b32_e32 v20, 2, v12
	v_and_b32_e32 v21, 0x78, v13
	v_cmp_gt_u32_e64 s3, 16, v0
	v_or_b32_e32 v4, 4, v4
	s_mul_u64 s[26:27], s[24:25], s[18:19]
	s_lshl_b64 s[22:23], s[18:19], 3
	s_lshl_b64 s[24:25], s[24:25], 12
	s_add_nc_u64 s[22:23], s[4:5], s[22:23]
	s_lshl_b64 s[26:27], s[26:27], 3
	v_lshl_add_u64 v[8:9], v[8:9], 3, s[14:15]
	s_branch .LBB77_3
.LBB77_2:                               ;   in Loop: Header=BB77_3 Depth=1
	s_wait_xcnt 0x0
	s_or_b32 exec_lo, exec_lo, s4
	s_add_co_i32 s16, s16, 0x10000
	s_delay_alu instid0(SALU_CYCLE_1)
	s_cmp_lt_u32 s16, s28
	s_cbranch_scc0 .LBB77_21
.LBB77_3:                               ; =>This Loop Header: Depth=1
                                        ;     Child Loop BB77_15 Depth 2
	s_wait_dscnt 0x0
	v_mov_b32_e32 v10, s16
	s_clause 0x1
	global_load_b64 v[12:13], v10, s[8:9] scale_offset
	global_load_b64 v[14:15], v10, s[12:13] scale_offset
	s_wait_xcnt 0x0
	v_mov_b64_e32 v[10:11], 0
	s_and_saveexec_b32 s4, vcc_lo
	s_cbranch_execnz .LBB77_12
; %bb.4:                                ;   in Loop: Header=BB77_3 Depth=1
	s_or_b32 exec_lo, exec_lo, s4
	s_and_saveexec_b32 s5, s0
	s_cbranch_execnz .LBB77_13
.LBB77_5:                               ;   in Loop: Header=BB77_3 Depth=1
	s_or_b32 exec_lo, exec_lo, s5
	s_and_saveexec_b32 s4, s1
.LBB77_6:                               ;   in Loop: Header=BB77_3 Depth=1
	ds_store_b64 v1, v[6:7]
.LBB77_7:                               ;   in Loop: Header=BB77_3 Depth=1
	s_or_b32 exec_lo, exec_lo, s4
	s_wait_loadcnt 0x1
	ds_bpermute_b32 v12, v16, v10
	ds_bpermute_b32 v13, v16, v11
	s_wait_loadcnt_dscnt 0x0
	s_barrier_signal -1
	s_barrier_wait -1
	v_pk_add_f32 v[10:11], v[10:11], v[12:13]
	ds_bpermute_b32 v12, v17, v10
	ds_bpermute_b32 v13, v17, v11
	s_wait_dscnt 0x0
	v_pk_add_f32 v[10:11], v[10:11], v[12:13]
	ds_bpermute_b32 v12, v18, v10
	ds_bpermute_b32 v13, v18, v11
	s_wait_dscnt 0x0
	;; [unrolled: 4-line block ×3, first 2 shown]
	v_pk_add_f32 v[10:11], v[10:11], v[12:13]
	ds_bpermute_b32 v12, v20, v10
	ds_bpermute_b32 v13, v20, v11
	s_and_saveexec_b32 s4, s2
	s_cbranch_execz .LBB77_9
; %bb.8:                                ;   in Loop: Header=BB77_3 Depth=1
	s_wait_dscnt 0x0
	v_pk_add_f32 v[10:11], v[10:11], v[12:13]
	ds_store_b64 v21, v[10:11]
.LBB77_9:                               ;   in Loop: Header=BB77_3 Depth=1
	s_or_b32 exec_lo, exec_lo, s4
	v_mov_b64_e32 v[10:11], 0
	s_wait_dscnt 0x0
	s_barrier_signal -1
	s_barrier_wait -1
	s_and_saveexec_b32 s4, s3
	s_cbranch_execnz .LBB77_17
; %bb.10:                               ;   in Loop: Header=BB77_3 Depth=1
	s_or_b32 exec_lo, exec_lo, s4
	s_and_saveexec_b32 s4, s1
	s_cbranch_execnz .LBB77_18
.LBB77_11:                              ;   in Loop: Header=BB77_3 Depth=1
	s_or_b32 exec_lo, exec_lo, s4
	s_and_saveexec_b32 s4, vcc_lo
	s_cbranch_execz .LBB77_2
	s_branch .LBB77_19
.LBB77_12:                              ;   in Loop: Header=BB77_3 Depth=1
	s_wait_loadcnt 0x1
	v_add_nc_u64_e32 v[10:11], s[10:11], v[12:13]
	s_wait_loadcnt 0x0
	v_add_nc_u64_e32 v[22:23], s[14:15], v[14:15]
	s_delay_alu instid0(VALU_DEP_2) | instskip(NEXT) | instid1(VALU_DEP_2)
	v_add_nc_u64_e32 v[10:11], v[10:11], v[2:3]
	v_add_nc_u64_e32 v[22:23], s[26:27], v[22:23]
	s_delay_alu instid0(VALU_DEP_2) | instskip(NEXT) | instid1(VALU_DEP_1)
	v_lshl_add_u64 v[10:11], s[20:21], 3, v[10:11]
	v_lshl_add_u64 v[10:11], s[18:19], 3, v[10:11]
	flat_load_b64 v[24:25], v[10:11]
	flat_load_b64 v[26:27], v[22:23]
	s_wait_loadcnt_dscnt 0x0
	s_wait_xcnt 0x1
	v_pk_mul_f32 v[10:11], v[24:25], v[26:27] op_sel:[1,1] op_sel_hi:[1,0]
	s_wait_xcnt 0x0
	s_delay_alu instid0(VALU_DEP_1) | instskip(SKIP_1) | instid1(VALU_DEP_2)
	v_pk_fma_f32 v[22:23], v[24:25], v[26:27], v[10:11] op_sel_hi:[0,1,1] neg_lo:[0,0,1] neg_hi:[0,0,1]
	v_pk_fma_f32 v[10:11], v[24:25], v[26:27], v[10:11]
	v_mov_b32_e32 v11, v23
	s_delay_alu instid0(VALU_DEP_1)
	v_pk_add_f32 v[10:11], v[10:11], 0 op_sel_hi:[1,0]
	s_or_b32 exec_lo, exec_lo, s4
	s_and_saveexec_b32 s5, s0
	s_cbranch_execz .LBB77_5
.LBB77_13:                              ;   in Loop: Header=BB77_3 Depth=1
	s_wait_loadcnt 0x1
	v_add_nc_u64_e32 v[12:13], v[12:13], v[4:5]
	s_wait_loadcnt 0x0
	v_add_nc_u64_e32 v[14:15], v[14:15], v[8:9]
	v_mov_b32_e32 v22, v0
	s_mov_b32 s30, 0
	s_branch .LBB77_15
.LBB77_14:                              ;   in Loop: Header=BB77_15 Depth=2
	s_wait_xcnt 0x0
	s_or_b32 exec_lo, exec_lo, s31
	v_add_nc_u32_e32 v22, 0x200, v22
	v_add_nc_u64_e32 v[12:13], 0x1000, v[12:13]
	v_add_nc_u64_e32 v[14:15], s[24:25], v[14:15]
	s_delay_alu instid0(VALU_DEP_3) | instskip(SKIP_1) | instid1(SALU_CYCLE_1)
	v_cmp_le_i32_e64 s4, s29, v22
	s_or_b32 s30, s4, s30
	s_and_not1_b32 exec_lo, exec_lo, s30
	s_cbranch_execz .LBB77_20
.LBB77_15:                              ;   Parent Loop BB77_3 Depth=1
                                        ; =>  This Inner Loop Header: Depth=2
	s_mov_b32 s31, exec_lo
	s_delay_alu instid0(VALU_DEP_1)
	v_cmpx_gt_i32_e64 s18, v22
	s_cbranch_execz .LBB77_14
; %bb.16:                               ;   in Loop: Header=BB77_15 Depth=2
	flat_load_b64 v[24:25], v[12:13] offset:-4
	flat_load_b64 v[26:27], v[14:15]
	s_wait_loadcnt_dscnt 0x0
	v_pk_mul_f32 v[28:29], v[24:25], v[26:27] op_sel:[1,1] op_sel_hi:[1,0]
	s_delay_alu instid0(VALU_DEP_1) | instskip(SKIP_1) | instid1(VALU_DEP_2)
	v_pk_fma_f32 v[30:31], v[24:25], v[26:27], v[28:29] op_sel_hi:[0,1,1] neg_lo:[0,0,1] neg_hi:[0,0,1]
	v_pk_fma_f32 v[24:25], v[24:25], v[26:27], v[28:29]
	v_mov_b32_e32 v25, v31
	s_delay_alu instid0(VALU_DEP_1)
	v_pk_add_f32 v[10:11], v[10:11], v[24:25]
	s_branch .LBB77_14
.LBB77_17:                              ;   in Loop: Header=BB77_3 Depth=1
	ds_load_b64 v[10:11], v1
	s_or_b32 exec_lo, exec_lo, s4
	s_and_saveexec_b32 s4, s1
	s_cbranch_execz .LBB77_11
.LBB77_18:                              ;   in Loop: Header=BB77_3 Depth=1
	s_wait_dscnt 0x0
	ds_bpermute_b32 v12, v17, v10
	ds_bpermute_b32 v13, v17, v11
	s_wait_dscnt 0x0
	v_pk_add_f32 v[10:11], v[10:11], v[12:13]
	ds_bpermute_b32 v12, v18, v10
	ds_bpermute_b32 v13, v18, v11
	s_wait_dscnt 0x0
	v_pk_add_f32 v[10:11], v[10:11], v[12:13]
	;; [unrolled: 4-line block ×4, first 2 shown]
	s_or_b32 exec_lo, exec_lo, s4
	s_and_saveexec_b32 s4, vcc_lo
	s_cbranch_execz .LBB77_2
.LBB77_19:                              ;   in Loop: Header=BB77_3 Depth=1
	s_mul_u64 s[30:31], s[6:7], s[16:17]
	s_delay_alu instid0(SALU_CYCLE_1) | instskip(NEXT) | instid1(SALU_CYCLE_1)
	s_lshl_b64 s[30:31], s[30:31], 3
	s_add_nc_u64 s[30:31], s[22:23], s[30:31]
	s_wait_dscnt 0x0
	global_store_b64 v3, v[10:11], s[30:31]
	s_branch .LBB77_2
.LBB77_20:                              ;   in Loop: Header=BB77_3 Depth=1
	s_or_b32 exec_lo, exec_lo, s30
	s_delay_alu instid0(SALU_CYCLE_1)
	s_or_b32 exec_lo, exec_lo, s5
	s_and_saveexec_b32 s4, s1
	s_cbranch_execnz .LBB77_6
	s_branch .LBB77_7
.LBB77_21:
	s_endpgm
	.section	.rodata,"a",@progbits
	.p2align	6, 0x0
	.amdhsa_kernel _ZL20rocblas_trmvt_kernelILi512ELb0ELb1ELb0EPKPK19rocblas_complex_numIfEPKPS1_S6_EviT3_lllT4_lllT5_li
		.amdhsa_group_segment_fixed_size 256
		.amdhsa_private_segment_fixed_size 0
		.amdhsa_kernarg_size 92
		.amdhsa_user_sgpr_count 2
		.amdhsa_user_sgpr_dispatch_ptr 0
		.amdhsa_user_sgpr_queue_ptr 0
		.amdhsa_user_sgpr_kernarg_segment_ptr 1
		.amdhsa_user_sgpr_dispatch_id 0
		.amdhsa_user_sgpr_kernarg_preload_length 0
		.amdhsa_user_sgpr_kernarg_preload_offset 0
		.amdhsa_user_sgpr_private_segment_size 0
		.amdhsa_wavefront_size32 1
		.amdhsa_uses_dynamic_stack 0
		.amdhsa_enable_private_segment 0
		.amdhsa_system_sgpr_workgroup_id_x 1
		.amdhsa_system_sgpr_workgroup_id_y 0
		.amdhsa_system_sgpr_workgroup_id_z 1
		.amdhsa_system_sgpr_workgroup_info 0
		.amdhsa_system_vgpr_workitem_id 0
		.amdhsa_next_free_vgpr 32
		.amdhsa_next_free_sgpr 32
		.amdhsa_named_barrier_count 0
		.amdhsa_reserve_vcc 1
		.amdhsa_float_round_mode_32 0
		.amdhsa_float_round_mode_16_64 0
		.amdhsa_float_denorm_mode_32 3
		.amdhsa_float_denorm_mode_16_64 3
		.amdhsa_fp16_overflow 0
		.amdhsa_memory_ordered 1
		.amdhsa_forward_progress 1
		.amdhsa_inst_pref_size 11
		.amdhsa_round_robin_scheduling 0
		.amdhsa_exception_fp_ieee_invalid_op 0
		.amdhsa_exception_fp_denorm_src 0
		.amdhsa_exception_fp_ieee_div_zero 0
		.amdhsa_exception_fp_ieee_overflow 0
		.amdhsa_exception_fp_ieee_underflow 0
		.amdhsa_exception_fp_ieee_inexact 0
		.amdhsa_exception_int_div_zero 0
	.end_amdhsa_kernel
	.section	.text._ZL20rocblas_trmvt_kernelILi512ELb0ELb1ELb0EPKPK19rocblas_complex_numIfEPKPS1_S6_EviT3_lllT4_lllT5_li,"axG",@progbits,_ZL20rocblas_trmvt_kernelILi512ELb0ELb1ELb0EPKPK19rocblas_complex_numIfEPKPS1_S6_EviT3_lllT4_lllT5_li,comdat
.Lfunc_end77:
	.size	_ZL20rocblas_trmvt_kernelILi512ELb0ELb1ELb0EPKPK19rocblas_complex_numIfEPKPS1_S6_EviT3_lllT4_lllT5_li, .Lfunc_end77-_ZL20rocblas_trmvt_kernelILi512ELb0ELb1ELb0EPKPK19rocblas_complex_numIfEPKPS1_S6_EviT3_lllT4_lllT5_li
                                        ; -- End function
	.set _ZL20rocblas_trmvt_kernelILi512ELb0ELb1ELb0EPKPK19rocblas_complex_numIfEPKPS1_S6_EviT3_lllT4_lllT5_li.num_vgpr, 32
	.set _ZL20rocblas_trmvt_kernelILi512ELb0ELb1ELb0EPKPK19rocblas_complex_numIfEPKPS1_S6_EviT3_lllT4_lllT5_li.num_agpr, 0
	.set _ZL20rocblas_trmvt_kernelILi512ELb0ELb1ELb0EPKPK19rocblas_complex_numIfEPKPS1_S6_EviT3_lllT4_lllT5_li.numbered_sgpr, 32
	.set _ZL20rocblas_trmvt_kernelILi512ELb0ELb1ELb0EPKPK19rocblas_complex_numIfEPKPS1_S6_EviT3_lllT4_lllT5_li.num_named_barrier, 0
	.set _ZL20rocblas_trmvt_kernelILi512ELb0ELb1ELb0EPKPK19rocblas_complex_numIfEPKPS1_S6_EviT3_lllT4_lllT5_li.private_seg_size, 0
	.set _ZL20rocblas_trmvt_kernelILi512ELb0ELb1ELb0EPKPK19rocblas_complex_numIfEPKPS1_S6_EviT3_lllT4_lllT5_li.uses_vcc, 1
	.set _ZL20rocblas_trmvt_kernelILi512ELb0ELb1ELb0EPKPK19rocblas_complex_numIfEPKPS1_S6_EviT3_lllT4_lllT5_li.uses_flat_scratch, 0
	.set _ZL20rocblas_trmvt_kernelILi512ELb0ELb1ELb0EPKPK19rocblas_complex_numIfEPKPS1_S6_EviT3_lllT4_lllT5_li.has_dyn_sized_stack, 0
	.set _ZL20rocblas_trmvt_kernelILi512ELb0ELb1ELb0EPKPK19rocblas_complex_numIfEPKPS1_S6_EviT3_lllT4_lllT5_li.has_recursion, 0
	.set _ZL20rocblas_trmvt_kernelILi512ELb0ELb1ELb0EPKPK19rocblas_complex_numIfEPKPS1_S6_EviT3_lllT4_lllT5_li.has_indirect_call, 0
	.section	.AMDGPU.csdata,"",@progbits
; Kernel info:
; codeLenInByte = 1296
; TotalNumSgprs: 34
; NumVgprs: 32
; ScratchSize: 0
; MemoryBound: 0
; FloatMode: 240
; IeeeMode: 1
; LDSByteSize: 256 bytes/workgroup (compile time only)
; SGPRBlocks: 0
; VGPRBlocks: 1
; NumSGPRsForWavesPerEU: 34
; NumVGPRsForWavesPerEU: 32
; NamedBarCnt: 0
; Occupancy: 16
; WaveLimiterHint : 1
; COMPUTE_PGM_RSRC2:SCRATCH_EN: 0
; COMPUTE_PGM_RSRC2:USER_SGPR: 2
; COMPUTE_PGM_RSRC2:TRAP_HANDLER: 0
; COMPUTE_PGM_RSRC2:TGID_X_EN: 1
; COMPUTE_PGM_RSRC2:TGID_Y_EN: 0
; COMPUTE_PGM_RSRC2:TGID_Z_EN: 1
; COMPUTE_PGM_RSRC2:TIDIG_COMP_CNT: 0
	.section	.text._ZL20rocblas_trmvn_kernelILi64ELi16ELb1ELb1EPKPK19rocblas_complex_numIfEPKPS1_S6_EviT3_lllT4_lllT5_li,"axG",@progbits,_ZL20rocblas_trmvn_kernelILi64ELi16ELb1ELb1EPKPK19rocblas_complex_numIfEPKPS1_S6_EviT3_lllT4_lllT5_li,comdat
	.globl	_ZL20rocblas_trmvn_kernelILi64ELi16ELb1ELb1EPKPK19rocblas_complex_numIfEPKPS1_S6_EviT3_lllT4_lllT5_li ; -- Begin function _ZL20rocblas_trmvn_kernelILi64ELi16ELb1ELb1EPKPK19rocblas_complex_numIfEPKPS1_S6_EviT3_lllT4_lllT5_li
	.p2align	8
	.type	_ZL20rocblas_trmvn_kernelILi64ELi16ELb1ELb1EPKPK19rocblas_complex_numIfEPKPS1_S6_EviT3_lllT4_lllT5_li,@function
_ZL20rocblas_trmvn_kernelILi64ELi16ELb1ELb1EPKPK19rocblas_complex_numIfEPKPS1_S6_EviT3_lllT4_lllT5_li: ; @_ZL20rocblas_trmvn_kernelILi64ELi16ELb1ELb1EPKPK19rocblas_complex_numIfEPKPS1_S6_EviT3_lllT4_lllT5_li
; %bb.0:
	s_load_b32 s3, s[0:1], 0x58
	s_bfe_u32 s2, ttmp6, 0x40014
	s_lshr_b32 s4, ttmp7, 16
	s_add_co_i32 s2, s2, 1
	s_bfe_u32 s6, ttmp6, 0x40008
	s_mul_i32 s5, s4, s2
	s_getreg_b32 s2, hwreg(HW_REG_IB_STS2, 6, 4)
	s_add_co_i32 s6, s6, s5
	s_cmp_eq_u32 s2, 0
	s_mov_b32 s17, 0
	s_cselect_b32 s16, s4, s6
	s_wait_kmcnt 0x0
	s_cmp_ge_u32 s16, s3
	s_cbranch_scc1 .LBB78_14
; %bb.1:
	s_clause 0x2
	s_load_b32 s4, s[0:1], 0x6c
	s_load_b64 s[20:21], s[0:1], 0x18
	s_load_b64 s[22:23], s[0:1], 0x38
	s_bfe_u32 s5, ttmp6, 0x4000c
	s_and_b32 s6, ttmp6, 15
	s_add_co_i32 s5, s5, 1
	v_and_b32_e32 v12, 0x3ff, v0
	s_mul_i32 s5, ttmp9, s5
	v_bfe_u32 v2, v0, 10, 10
	s_add_co_i32 s8, s6, s5
	s_load_b128 s[12:15], s[0:1], 0x8
	s_delay_alu instid0(VALU_DEP_1)
	v_dual_lshlrev_b32 v15, 3, v12 :: v_dual_lshlrev_b32 v16, 9, v2
	s_wait_kmcnt 0x0
	s_and_b32 s19, s4, 0xffff
	s_cmp_eq_u32 s2, 0
	s_load_b128 s[4:7], s[0:1], 0x28
	s_cselect_b32 s2, ttmp9, s8
	s_clause 0x1
	s_load_b32 s18, s[0:1], 0x0
	s_load_b128 s[8:11], s[0:1], 0x48
	v_lshl_add_u32 v0, s2, 6, v12
	v_mov_b32_e32 v3, 0
	v_mad_u32_u24 v14, v2, s19, v12
	v_cmp_eq_u32_e64 s2, 0, v2
	s_delay_alu instid0(VALU_DEP_4) | instskip(NEXT) | instid1(VALU_DEP_4)
	v_ashrrev_i32_e32 v1, 31, v0
	v_mul_u64_e32 v[6:7], s[20:21], v[2:3]
	v_mul_u64_e32 v[10:11], s[22:23], v[2:3]
	v_mul_u32_u24_e32 v3, s19, v2
	s_wait_xcnt 0x0
	v_cmp_gt_u32_e64 s1, 64, v14
	v_mul_u64_e32 v[4:5], s[22:23], v[0:1]
	v_lshlrev_b64_e32 v[8:9], 3, v[0:1]
	s_lshl_b64 s[14:15], s[14:15], 3
	v_lshl_add_u32 v1, v3, 3, v15
	v_add_nc_u32_e32 v3, v15, v16
	s_wait_kmcnt 0x0
	s_lshl_b64 s[6:7], s[6:7], 3
	v_cmp_gt_i32_e32 vcc_lo, s18, v0
	v_cmp_gt_i32_e64 s0, s18, v2
	s_and_b32 s19, s2, vcc_lo
	v_lshl_add_u64 v[12:13], v[6:7], 3, s[14:15]
	v_add_nc_u64_e32 v[6:7], s[8:9], v[8:9]
	v_lshl_add_u64 v[10:11], v[10:11], 3, s[6:7]
	s_lshl_b64 s[8:9], s[22:23], 7
	s_lshl_b64 s[14:15], s[20:21], 7
	v_add_nc_u64_e32 v[8:9], v[12:13], v[8:9]
	s_branch .LBB78_3
.LBB78_2:                               ;   in Loop: Header=BB78_3 Depth=1
	s_wait_xcnt 0x0
	s_or_b32 exec_lo, exec_lo, s2
	s_add_co_i32 s16, s16, 0x10000
	s_delay_alu instid0(SALU_CYCLE_1)
	s_cmp_lt_u32 s16, s3
	s_cbranch_scc0 .LBB78_14
.LBB78_3:                               ; =>This Loop Header: Depth=1
                                        ;     Child Loop BB78_8 Depth 2
	v_mov_b32_e32 v12, s16
	s_clause 0x1
	global_load_b64 v[16:17], v12, s[12:13] scale_offset
	global_load_b64 v[14:15], v12, s[4:5] scale_offset
	s_wait_xcnt 0x0
	v_mov_b64_e32 v[12:13], 0
	s_and_saveexec_b32 s2, s19
	s_cbranch_execz .LBB78_5
; %bb.4:                                ;   in Loop: Header=BB78_3 Depth=1
	s_wait_loadcnt 0x0
	v_add_nc_u64_e32 v[12:13], s[6:7], v[14:15]
	s_delay_alu instid0(VALU_DEP_1)
	v_lshl_add_u64 v[12:13], v[4:5], 3, v[12:13]
	flat_load_b64 v[12:13], v[12:13]
.LBB78_5:                               ;   in Loop: Header=BB78_3 Depth=1
	s_wait_xcnt 0x0
	s_or_b32 exec_lo, exec_lo, s2
	s_and_saveexec_b32 s20, s0
	s_cbranch_execz .LBB78_11
; %bb.6:                                ;   in Loop: Header=BB78_3 Depth=1
	s_wait_loadcnt 0x0
	v_add_nc_u64_e32 v[14:15], v[14:15], v[10:11]
	v_add_nc_u64_e32 v[16:17], v[16:17], v[8:9]
	v_mov_b32_e32 v18, v2
	s_mov_b32 s21, 0
	s_branch .LBB78_8
.LBB78_7:                               ;   in Loop: Header=BB78_8 Depth=2
	s_wait_xcnt 0x0
	s_or_b32 exec_lo, exec_lo, s2
	v_add_nc_u32_e32 v18, 16, v18
	v_add_nc_u64_e32 v[14:15], s[8:9], v[14:15]
	v_add_nc_u64_e32 v[16:17], s[14:15], v[16:17]
	s_delay_alu instid0(VALU_DEP_3) | instskip(SKIP_1) | instid1(SALU_CYCLE_1)
	v_cmp_le_i32_e64 s2, s18, v18
	s_or_b32 s21, s2, s21
	s_and_not1_b32 exec_lo, exec_lo, s21
	s_cbranch_execz .LBB78_10
.LBB78_8:                               ;   Parent Loop BB78_3 Depth=1
                                        ; =>  This Inner Loop Header: Depth=2
	s_delay_alu instid0(VALU_DEP_1) | instskip(SKIP_1) | instid1(SALU_CYCLE_1)
	v_cmp_lt_i32_e64 s2, v18, v0
	s_and_b32 s22, vcc_lo, s2
	s_and_saveexec_b32 s2, s22
	s_cbranch_execz .LBB78_7
; %bb.9:                                ;   in Loop: Header=BB78_8 Depth=2
	flat_load_b64 v[20:21], v[16:17]
	flat_load_b64 v[22:23], v[14:15]
	s_wait_loadcnt_dscnt 0x0
	v_pk_mul_f32 v[24:25], v[22:23], v[20:21] op_sel:[1,1] op_sel_hi:[0,1]
	s_delay_alu instid0(VALU_DEP_1) | instskip(SKIP_1) | instid1(VALU_DEP_2)
	v_pk_fma_f32 v[26:27], v[22:23], v[20:21], v[24:25] op_sel_hi:[1,0,1]
	v_pk_fma_f32 v[20:21], v[22:23], v[20:21], v[24:25] neg_lo:[0,0,1] neg_hi:[0,0,1]
	v_mov_b32_e32 v21, v27
	s_delay_alu instid0(VALU_DEP_1)
	v_pk_add_f32 v[12:13], v[12:13], v[20:21]
	s_branch .LBB78_7
.LBB78_10:                              ;   in Loop: Header=BB78_3 Depth=1
	s_or_b32 exec_lo, exec_lo, s21
.LBB78_11:                              ;   in Loop: Header=BB78_3 Depth=1
	s_delay_alu instid0(SALU_CYCLE_1)
	s_or_b32 exec_lo, exec_lo, s20
	s_wait_loadcnt_dscnt 0x0
	ds_store_b64 v3, v[12:13]
	s_wait_dscnt 0x0
	s_barrier_signal -1
	s_barrier_wait -1
	s_and_saveexec_b32 s2, s1
	s_cbranch_execz .LBB78_2
; %bb.12:                               ;   in Loop: Header=BB78_3 Depth=1
	ds_load_2addr_stride64_b64 v[12:15], v1 offset1:1
	ds_load_2addr_stride64_b64 v[16:19], v1 offset0:2 offset1:3
	ds_load_2addr_stride64_b64 v[20:23], v1 offset0:4 offset1:5
	s_wait_dscnt 0x2
	v_pk_add_f32 v[24:25], v[12:13], v[14:15]
	ds_load_2addr_stride64_b64 v[12:15], v1 offset0:6 offset1:7
	s_wait_dscnt 0x2
	v_pk_add_f32 v[16:17], v[24:25], v[16:17]
	s_delay_alu instid0(VALU_DEP_1) | instskip(SKIP_3) | instid1(VALU_DEP_1)
	v_pk_add_f32 v[24:25], v[16:17], v[18:19]
	ds_load_2addr_stride64_b64 v[16:19], v1 offset0:8 offset1:9
	s_wait_dscnt 0x2
	v_pk_add_f32 v[20:21], v[24:25], v[20:21]
	v_pk_add_f32 v[24:25], v[20:21], v[22:23]
	ds_load_2addr_stride64_b64 v[20:23], v1 offset0:10 offset1:11
	s_wait_dscnt 0x2
	v_pk_add_f32 v[12:13], v[24:25], v[12:13]
	s_delay_alu instid0(VALU_DEP_1) | instskip(SKIP_1) | instid1(VALU_DEP_1)
	v_pk_add_f32 v[12:13], v[12:13], v[14:15]
	s_wait_dscnt 0x1
	v_pk_add_f32 v[16:17], v[12:13], v[16:17]
	ds_load_2addr_stride64_b64 v[12:15], v1 offset0:12 offset1:13
	v_pk_add_f32 v[16:17], v[16:17], v[18:19]
	s_wait_dscnt 0x1
	s_delay_alu instid0(VALU_DEP_1) | instskip(SKIP_3) | instid1(VALU_DEP_1)
	v_pk_add_f32 v[20:21], v[16:17], v[20:21]
	ds_load_2addr_stride64_b64 v[16:19], v1 offset0:14 offset1:15
	v_pk_add_f32 v[20:21], v[20:21], v[22:23]
	s_wait_dscnt 0x1
	v_pk_add_f32 v[12:13], v[20:21], v[12:13]
	s_delay_alu instid0(VALU_DEP_1) | instskip(SKIP_1) | instid1(VALU_DEP_1)
	v_pk_add_f32 v[12:13], v[12:13], v[14:15]
	s_wait_dscnt 0x0
	v_pk_add_f32 v[12:13], v[12:13], v[16:17]
	s_delay_alu instid0(VALU_DEP_1)
	v_pk_add_f32 v[12:13], v[12:13], v[18:19]
	ds_store_b64 v1, v[12:13]
	s_and_b32 exec_lo, exec_lo, vcc_lo
	s_cbranch_execz .LBB78_2
; %bb.13:                               ;   in Loop: Header=BB78_3 Depth=1
	s_mul_u64 s[20:21], s[10:11], s[16:17]
	s_delay_alu instid0(SALU_CYCLE_1)
	v_lshl_add_u64 v[14:15], s[20:21], 3, v[6:7]
	global_store_b64 v[14:15], v[12:13], off
	s_branch .LBB78_2
.LBB78_14:
	s_endpgm
	.section	.rodata,"a",@progbits
	.p2align	6, 0x0
	.amdhsa_kernel _ZL20rocblas_trmvn_kernelILi64ELi16ELb1ELb1EPKPK19rocblas_complex_numIfEPKPS1_S6_EviT3_lllT4_lllT5_li
		.amdhsa_group_segment_fixed_size 8192
		.amdhsa_private_segment_fixed_size 0
		.amdhsa_kernarg_size 352
		.amdhsa_user_sgpr_count 2
		.amdhsa_user_sgpr_dispatch_ptr 0
		.amdhsa_user_sgpr_queue_ptr 0
		.amdhsa_user_sgpr_kernarg_segment_ptr 1
		.amdhsa_user_sgpr_dispatch_id 0
		.amdhsa_user_sgpr_kernarg_preload_length 0
		.amdhsa_user_sgpr_kernarg_preload_offset 0
		.amdhsa_user_sgpr_private_segment_size 0
		.amdhsa_wavefront_size32 1
		.amdhsa_uses_dynamic_stack 0
		.amdhsa_enable_private_segment 0
		.amdhsa_system_sgpr_workgroup_id_x 1
		.amdhsa_system_sgpr_workgroup_id_y 0
		.amdhsa_system_sgpr_workgroup_id_z 1
		.amdhsa_system_sgpr_workgroup_info 0
		.amdhsa_system_vgpr_workitem_id 1
		.amdhsa_next_free_vgpr 28
		.amdhsa_next_free_sgpr 24
		.amdhsa_named_barrier_count 0
		.amdhsa_reserve_vcc 1
		.amdhsa_float_round_mode_32 0
		.amdhsa_float_round_mode_16_64 0
		.amdhsa_float_denorm_mode_32 3
		.amdhsa_float_denorm_mode_16_64 3
		.amdhsa_fp16_overflow 0
		.amdhsa_memory_ordered 1
		.amdhsa_forward_progress 1
		.amdhsa_inst_pref_size 8
		.amdhsa_round_robin_scheduling 0
		.amdhsa_exception_fp_ieee_invalid_op 0
		.amdhsa_exception_fp_denorm_src 0
		.amdhsa_exception_fp_ieee_div_zero 0
		.amdhsa_exception_fp_ieee_overflow 0
		.amdhsa_exception_fp_ieee_underflow 0
		.amdhsa_exception_fp_ieee_inexact 0
		.amdhsa_exception_int_div_zero 0
	.end_amdhsa_kernel
	.section	.text._ZL20rocblas_trmvn_kernelILi64ELi16ELb1ELb1EPKPK19rocblas_complex_numIfEPKPS1_S6_EviT3_lllT4_lllT5_li,"axG",@progbits,_ZL20rocblas_trmvn_kernelILi64ELi16ELb1ELb1EPKPK19rocblas_complex_numIfEPKPS1_S6_EviT3_lllT4_lllT5_li,comdat
.Lfunc_end78:
	.size	_ZL20rocblas_trmvn_kernelILi64ELi16ELb1ELb1EPKPK19rocblas_complex_numIfEPKPS1_S6_EviT3_lllT4_lllT5_li, .Lfunc_end78-_ZL20rocblas_trmvn_kernelILi64ELi16ELb1ELb1EPKPK19rocblas_complex_numIfEPKPS1_S6_EviT3_lllT4_lllT5_li
                                        ; -- End function
	.set _ZL20rocblas_trmvn_kernelILi64ELi16ELb1ELb1EPKPK19rocblas_complex_numIfEPKPS1_S6_EviT3_lllT4_lllT5_li.num_vgpr, 28
	.set _ZL20rocblas_trmvn_kernelILi64ELi16ELb1ELb1EPKPK19rocblas_complex_numIfEPKPS1_S6_EviT3_lllT4_lllT5_li.num_agpr, 0
	.set _ZL20rocblas_trmvn_kernelILi64ELi16ELb1ELb1EPKPK19rocblas_complex_numIfEPKPS1_S6_EviT3_lllT4_lllT5_li.numbered_sgpr, 24
	.set _ZL20rocblas_trmvn_kernelILi64ELi16ELb1ELb1EPKPK19rocblas_complex_numIfEPKPS1_S6_EviT3_lllT4_lllT5_li.num_named_barrier, 0
	.set _ZL20rocblas_trmvn_kernelILi64ELi16ELb1ELb1EPKPK19rocblas_complex_numIfEPKPS1_S6_EviT3_lllT4_lllT5_li.private_seg_size, 0
	.set _ZL20rocblas_trmvn_kernelILi64ELi16ELb1ELb1EPKPK19rocblas_complex_numIfEPKPS1_S6_EviT3_lllT4_lllT5_li.uses_vcc, 1
	.set _ZL20rocblas_trmvn_kernelILi64ELi16ELb1ELb1EPKPK19rocblas_complex_numIfEPKPS1_S6_EviT3_lllT4_lllT5_li.uses_flat_scratch, 0
	.set _ZL20rocblas_trmvn_kernelILi64ELi16ELb1ELb1EPKPK19rocblas_complex_numIfEPKPS1_S6_EviT3_lllT4_lllT5_li.has_dyn_sized_stack, 0
	.set _ZL20rocblas_trmvn_kernelILi64ELi16ELb1ELb1EPKPK19rocblas_complex_numIfEPKPS1_S6_EviT3_lllT4_lllT5_li.has_recursion, 0
	.set _ZL20rocblas_trmvn_kernelILi64ELi16ELb1ELb1EPKPK19rocblas_complex_numIfEPKPS1_S6_EviT3_lllT4_lllT5_li.has_indirect_call, 0
	.section	.AMDGPU.csdata,"",@progbits
; Kernel info:
; codeLenInByte = 976
; TotalNumSgprs: 26
; NumVgprs: 28
; ScratchSize: 0
; MemoryBound: 0
; FloatMode: 240
; IeeeMode: 1
; LDSByteSize: 8192 bytes/workgroup (compile time only)
; SGPRBlocks: 0
; VGPRBlocks: 1
; NumSGPRsForWavesPerEU: 26
; NumVGPRsForWavesPerEU: 28
; NamedBarCnt: 0
; Occupancy: 16
; WaveLimiterHint : 1
; COMPUTE_PGM_RSRC2:SCRATCH_EN: 0
; COMPUTE_PGM_RSRC2:USER_SGPR: 2
; COMPUTE_PGM_RSRC2:TRAP_HANDLER: 0
; COMPUTE_PGM_RSRC2:TGID_X_EN: 1
; COMPUTE_PGM_RSRC2:TGID_Y_EN: 0
; COMPUTE_PGM_RSRC2:TGID_Z_EN: 1
; COMPUTE_PGM_RSRC2:TIDIG_COMP_CNT: 1
	.section	.text._ZL20rocblas_trmvt_kernelILi512ELb1ELb0ELb1EPKPK19rocblas_complex_numIfEPKPS1_S6_EviT3_lllT4_lllT5_li,"axG",@progbits,_ZL20rocblas_trmvt_kernelILi512ELb1ELb0ELb1EPKPK19rocblas_complex_numIfEPKPS1_S6_EviT3_lllT4_lllT5_li,comdat
	.globl	_ZL20rocblas_trmvt_kernelILi512ELb1ELb0ELb1EPKPK19rocblas_complex_numIfEPKPS1_S6_EviT3_lllT4_lllT5_li ; -- Begin function _ZL20rocblas_trmvt_kernelILi512ELb1ELb0ELb1EPKPK19rocblas_complex_numIfEPKPS1_S6_EviT3_lllT4_lllT5_li
	.p2align	8
	.type	_ZL20rocblas_trmvt_kernelILi512ELb1ELb0ELb1EPKPK19rocblas_complex_numIfEPKPS1_S6_EviT3_lllT4_lllT5_li,@function
_ZL20rocblas_trmvt_kernelILi512ELb1ELb0ELb1EPKPK19rocblas_complex_numIfEPKPS1_S6_EviT3_lllT4_lllT5_li: ; @_ZL20rocblas_trmvt_kernelILi512ELb1ELb0ELb1EPKPK19rocblas_complex_numIfEPKPS1_S6_EviT3_lllT4_lllT5_li
; %bb.0:
	s_load_b32 s28, s[0:1], 0x58
	s_bfe_u32 s2, ttmp6, 0x40014
	s_lshr_b32 s4, ttmp7, 16
	s_add_co_i32 s2, s2, 1
	s_bfe_u32 s5, ttmp6, 0x40008
	s_mul_i32 s2, s4, s2
	s_getreg_b32 s3, hwreg(HW_REG_IB_STS2, 6, 4)
	s_add_co_i32 s5, s5, s2
	s_cmp_eq_u32 s3, 0
	s_mov_b32 s17, 0
	s_cselect_b32 s16, s4, s5
	s_wait_kmcnt 0x0
	s_cmp_ge_u32 s16, s28
	s_cbranch_scc1 .LBB79_21
; %bb.1:
	s_clause 0x5
	s_load_b64 s[24:25], s[0:1], 0x38
	s_load_b32 s29, s[0:1], 0x0
	s_load_b128 s[8:11], s[0:1], 0x8
	s_load_b64 s[20:21], s[0:1], 0x18
	s_load_b128 s[12:15], s[0:1], 0x28
	s_load_b128 s[4:7], s[0:1], 0x48
	v_dual_mov_b32 v3, 0 :: v_dual_bitop2_b32 v2, 31, v0 bitop3:0x40
	v_mbcnt_lo_u32_b32 v8, -1, 0
	s_bfe_u32 s2, ttmp6, 0x4000c
	s_delay_alu instid0(VALU_DEP_2)
	v_dual_lshrrev_b32 v9, 2, v0 :: v_dual_mov_b32 v1, v3
	s_add_co_i32 s2, s2, 1
	s_and_b32 s18, ttmp6, 15
	s_mul_i32 s19, ttmp9, s2
	v_cmp_gt_u32_e64 s2, 24, v8
	s_add_co_i32 s18, s18, s19
	s_cmp_eq_u32 s3, 0
	v_mov_b64_e32 v[4:5], 0
	s_cselect_b32 s18, ttmp9, s18
	s_wait_kmcnt 0x0
	v_mul_u64_e32 v[6:7], s[24:25], v[0:1]
	v_cndmask_b32_e64 v10, 0, 8, s2
	v_cmp_gt_u32_e64 s2, 28, v8
	v_cmp_gt_i32_e64 s3, s29, v0
	s_lshl_b64 s[14:15], s[14:15], 3
	s_ashr_i32 s19, s18, 31
	v_cmp_gt_u32_e64 s0, 32, v0
	v_cndmask_b32_e64 v11, 0, 4, s2
	v_cmp_gt_u32_e64 s2, 30, v8
	v_cmp_gt_u32_e64 s1, 16, v0
	v_lshl_or_b32 v14, v8, 2, 64
	v_and_b32_e32 v15, 0x78, v9
	v_add_lshl_u32 v16, v10, v8, 2
	v_cndmask_b32_e64 v12, 0, 2, s2
	v_cmp_ne_u32_e64 s2, 31, v8
	v_add_lshl_u32 v17, v11, v8, 2
	s_lshl_b64 s[22:23], s[18:19], 3
	s_mul_u64 s[26:27], s[24:25], s[18:19]
	v_add_lshl_u32 v18, v12, v8, 2
	v_add_co_ci_u32_e64 v13, null, 0, v8, s2
	v_lshlrev_b32_e32 v1, 3, v2
	v_cmp_eq_u32_e64 s2, 0, v2
	s_delay_alu instid0(VALU_DEP_3) | instskip(SKIP_3) | instid1(VALU_DEP_1)
	v_dual_cndmask_b32 v2, 0, v0, s3 :: v_dual_lshlrev_b32 v19, 2, v13
	s_mul_u64 s[20:21], s[20:21], s[18:19]
	s_add_nc_u64 s[22:23], s[4:5], s[22:23]
	s_lshl_b64 s[24:25], s[24:25], 12
	v_lshlrev_b32_e32 v2, 3, v2
	s_lshl_b64 s[26:27], s[26:27], 3
	s_lshl_b64 s[10:11], s[10:11], 3
	v_cmp_eq_u32_e32 vcc_lo, 0, v0
	v_lshl_add_u64 v[6:7], v[6:7], 3, s[14:15]
	s_branch .LBB79_3
.LBB79_2:                               ;   in Loop: Header=BB79_3 Depth=1
	s_wait_xcnt 0x0
	s_or_b32 exec_lo, exec_lo, s4
	s_add_co_i32 s16, s16, 0x10000
	s_delay_alu instid0(SALU_CYCLE_1)
	s_cmp_lt_u32 s16, s28
	s_cbranch_scc0 .LBB79_21
.LBB79_3:                               ; =>This Loop Header: Depth=1
                                        ;     Child Loop BB79_15 Depth 2
	s_wait_dscnt 0x0
	v_mov_b32_e32 v8, s16
	s_clause 0x1
	global_load_b64 v[12:13], v8, s[8:9] scale_offset
	global_load_b64 v[10:11], v8, s[12:13] scale_offset
	s_wait_xcnt 0x0
	v_mov_b64_e32 v[8:9], 0
	s_and_saveexec_b32 s4, vcc_lo
	s_cbranch_execnz .LBB79_12
; %bb.4:                                ;   in Loop: Header=BB79_3 Depth=1
	s_or_b32 exec_lo, exec_lo, s4
	s_and_saveexec_b32 s5, s3
	s_cbranch_execnz .LBB79_13
.LBB79_5:                               ;   in Loop: Header=BB79_3 Depth=1
	s_or_b32 exec_lo, exec_lo, s5
	s_and_saveexec_b32 s4, s0
.LBB79_6:                               ;   in Loop: Header=BB79_3 Depth=1
	ds_store_b64 v1, v[4:5]
.LBB79_7:                               ;   in Loop: Header=BB79_3 Depth=1
	s_or_b32 exec_lo, exec_lo, s4
	s_wait_loadcnt 0x0
	ds_bpermute_b32 v10, v14, v8
	ds_bpermute_b32 v11, v14, v9
	s_wait_dscnt 0x0
	s_barrier_signal -1
	s_barrier_wait -1
	v_pk_add_f32 v[8:9], v[8:9], v[10:11]
	ds_bpermute_b32 v10, v16, v8
	ds_bpermute_b32 v11, v16, v9
	s_wait_dscnt 0x0
	v_pk_add_f32 v[8:9], v[8:9], v[10:11]
	ds_bpermute_b32 v10, v17, v8
	ds_bpermute_b32 v11, v17, v9
	s_wait_dscnt 0x0
	;; [unrolled: 4-line block ×3, first 2 shown]
	v_pk_add_f32 v[8:9], v[8:9], v[10:11]
	ds_bpermute_b32 v10, v19, v8
	ds_bpermute_b32 v11, v19, v9
	s_and_saveexec_b32 s4, s2
	s_cbranch_execz .LBB79_9
; %bb.8:                                ;   in Loop: Header=BB79_3 Depth=1
	s_wait_dscnt 0x0
	v_pk_add_f32 v[8:9], v[8:9], v[10:11]
	ds_store_b64 v15, v[8:9]
.LBB79_9:                               ;   in Loop: Header=BB79_3 Depth=1
	s_or_b32 exec_lo, exec_lo, s4
	v_mov_b64_e32 v[8:9], 0
	s_wait_dscnt 0x0
	s_barrier_signal -1
	s_barrier_wait -1
	s_and_saveexec_b32 s4, s1
	s_cbranch_execnz .LBB79_17
; %bb.10:                               ;   in Loop: Header=BB79_3 Depth=1
	s_or_b32 exec_lo, exec_lo, s4
	s_and_saveexec_b32 s4, s0
	s_cbranch_execnz .LBB79_18
.LBB79_11:                              ;   in Loop: Header=BB79_3 Depth=1
	s_or_b32 exec_lo, exec_lo, s4
	s_and_saveexec_b32 s4, vcc_lo
	s_cbranch_execz .LBB79_2
	s_branch .LBB79_19
.LBB79_12:                              ;   in Loop: Header=BB79_3 Depth=1
	s_wait_loadcnt 0x0
	v_add_nc_u64_e32 v[8:9], s[14:15], v[10:11]
	s_delay_alu instid0(VALU_DEP_1)
	v_add_nc_u64_e32 v[8:9], s[26:27], v[8:9]
	flat_load_b64 v[8:9], v[8:9]
	s_wait_loadcnt_dscnt 0x0
	s_wait_xcnt 0x0
	v_pk_add_f32 v[8:9], v[8:9], 0 op_sel_hi:[1,0]
	s_or_b32 exec_lo, exec_lo, s4
	s_and_saveexec_b32 s5, s3
	s_cbranch_execz .LBB79_5
.LBB79_13:                              ;   in Loop: Header=BB79_3 Depth=1
	s_wait_loadcnt 0x1
	v_add_nc_u64_e32 v[12:13], s[10:11], v[12:13]
	s_wait_loadcnt 0x0
	v_add_nc_u64_e32 v[10:11], v[10:11], v[6:7]
	v_mov_b32_e32 v20, v0
	s_mov_b32 s19, 0
	s_delay_alu instid0(VALU_DEP_3) | instskip(NEXT) | instid1(VALU_DEP_1)
	v_add_nc_u64_e32 v[12:13], v[12:13], v[2:3]
	v_lshl_add_u64 v[12:13], s[20:21], 3, v[12:13]
	s_branch .LBB79_15
.LBB79_14:                              ;   in Loop: Header=BB79_15 Depth=2
	s_wait_xcnt 0x0
	s_or_b32 exec_lo, exec_lo, s30
	v_add_nc_u32_e32 v20, 0x200, v20
	v_add_nc_u64_e32 v[12:13], 0x1000, v[12:13]
	v_add_nc_u64_e32 v[10:11], s[24:25], v[10:11]
	s_delay_alu instid0(VALU_DEP_3) | instskip(SKIP_1) | instid1(SALU_CYCLE_1)
	v_cmp_le_i32_e64 s4, s29, v20
	s_or_b32 s19, s4, s19
	s_and_not1_b32 exec_lo, exec_lo, s19
	s_cbranch_execz .LBB79_20
.LBB79_15:                              ;   Parent Loop BB79_3 Depth=1
                                        ; =>  This Inner Loop Header: Depth=2
	s_mov_b32 s30, exec_lo
	v_cmpx_lt_i32_e64 s18, v20
	s_cbranch_execz .LBB79_14
; %bb.16:                               ;   in Loop: Header=BB79_15 Depth=2
	flat_load_b64 v[22:23], v[12:13]
	flat_load_b64 v[24:25], v[10:11]
	s_wait_loadcnt_dscnt 0x0
	v_pk_mul_f32 v[26:27], v[24:25], v[22:23] op_sel:[1,1] op_sel_hi:[0,1]
	s_delay_alu instid0(VALU_DEP_1) | instskip(SKIP_1) | instid1(VALU_DEP_2)
	v_pk_fma_f32 v[28:29], v[24:25], v[22:23], v[26:27] op_sel_hi:[1,0,1]
	v_pk_fma_f32 v[22:23], v[24:25], v[22:23], v[26:27] neg_lo:[0,0,1] neg_hi:[0,0,1]
	v_mov_b32_e32 v23, v29
	s_delay_alu instid0(VALU_DEP_1)
	v_pk_add_f32 v[8:9], v[8:9], v[22:23]
	s_branch .LBB79_14
.LBB79_17:                              ;   in Loop: Header=BB79_3 Depth=1
	ds_load_b64 v[8:9], v1
	s_or_b32 exec_lo, exec_lo, s4
	s_and_saveexec_b32 s4, s0
	s_cbranch_execz .LBB79_11
.LBB79_18:                              ;   in Loop: Header=BB79_3 Depth=1
	s_wait_dscnt 0x0
	ds_bpermute_b32 v10, v16, v8
	ds_bpermute_b32 v11, v16, v9
	s_wait_dscnt 0x0
	v_pk_add_f32 v[8:9], v[8:9], v[10:11]
	ds_bpermute_b32 v10, v17, v8
	ds_bpermute_b32 v11, v17, v9
	s_wait_dscnt 0x0
	v_pk_add_f32 v[8:9], v[8:9], v[10:11]
	;; [unrolled: 4-line block ×4, first 2 shown]
	s_or_b32 exec_lo, exec_lo, s4
	s_and_saveexec_b32 s4, vcc_lo
	s_cbranch_execz .LBB79_2
.LBB79_19:                              ;   in Loop: Header=BB79_3 Depth=1
	s_mul_u64 s[30:31], s[6:7], s[16:17]
	s_delay_alu instid0(SALU_CYCLE_1) | instskip(NEXT) | instid1(SALU_CYCLE_1)
	s_lshl_b64 s[30:31], s[30:31], 3
	s_add_nc_u64 s[30:31], s[22:23], s[30:31]
	s_wait_dscnt 0x0
	global_store_b64 v3, v[8:9], s[30:31]
	s_branch .LBB79_2
.LBB79_20:                              ;   in Loop: Header=BB79_3 Depth=1
	s_or_b32 exec_lo, exec_lo, s19
	s_delay_alu instid0(SALU_CYCLE_1)
	s_or_b32 exec_lo, exec_lo, s5
	s_and_saveexec_b32 s4, s0
	s_cbranch_execnz .LBB79_6
	s_branch .LBB79_7
.LBB79_21:
	s_endpgm
	.section	.rodata,"a",@progbits
	.p2align	6, 0x0
	.amdhsa_kernel _ZL20rocblas_trmvt_kernelILi512ELb1ELb0ELb1EPKPK19rocblas_complex_numIfEPKPS1_S6_EviT3_lllT4_lllT5_li
		.amdhsa_group_segment_fixed_size 256
		.amdhsa_private_segment_fixed_size 0
		.amdhsa_kernarg_size 92
		.amdhsa_user_sgpr_count 2
		.amdhsa_user_sgpr_dispatch_ptr 0
		.amdhsa_user_sgpr_queue_ptr 0
		.amdhsa_user_sgpr_kernarg_segment_ptr 1
		.amdhsa_user_sgpr_dispatch_id 0
		.amdhsa_user_sgpr_kernarg_preload_length 0
		.amdhsa_user_sgpr_kernarg_preload_offset 0
		.amdhsa_user_sgpr_private_segment_size 0
		.amdhsa_wavefront_size32 1
		.amdhsa_uses_dynamic_stack 0
		.amdhsa_enable_private_segment 0
		.amdhsa_system_sgpr_workgroup_id_x 1
		.amdhsa_system_sgpr_workgroup_id_y 0
		.amdhsa_system_sgpr_workgroup_id_z 1
		.amdhsa_system_sgpr_workgroup_info 0
		.amdhsa_system_vgpr_workitem_id 0
		.amdhsa_next_free_vgpr 30
		.amdhsa_next_free_sgpr 32
		.amdhsa_named_barrier_count 0
		.amdhsa_reserve_vcc 1
		.amdhsa_float_round_mode_32 0
		.amdhsa_float_round_mode_16_64 0
		.amdhsa_float_denorm_mode_32 3
		.amdhsa_float_denorm_mode_16_64 3
		.amdhsa_fp16_overflow 0
		.amdhsa_memory_ordered 1
		.amdhsa_forward_progress 1
		.amdhsa_inst_pref_size 10
		.amdhsa_round_robin_scheduling 0
		.amdhsa_exception_fp_ieee_invalid_op 0
		.amdhsa_exception_fp_denorm_src 0
		.amdhsa_exception_fp_ieee_div_zero 0
		.amdhsa_exception_fp_ieee_overflow 0
		.amdhsa_exception_fp_ieee_underflow 0
		.amdhsa_exception_fp_ieee_inexact 0
		.amdhsa_exception_int_div_zero 0
	.end_amdhsa_kernel
	.section	.text._ZL20rocblas_trmvt_kernelILi512ELb1ELb0ELb1EPKPK19rocblas_complex_numIfEPKPS1_S6_EviT3_lllT4_lllT5_li,"axG",@progbits,_ZL20rocblas_trmvt_kernelILi512ELb1ELb0ELb1EPKPK19rocblas_complex_numIfEPKPS1_S6_EviT3_lllT4_lllT5_li,comdat
.Lfunc_end79:
	.size	_ZL20rocblas_trmvt_kernelILi512ELb1ELb0ELb1EPKPK19rocblas_complex_numIfEPKPS1_S6_EviT3_lllT4_lllT5_li, .Lfunc_end79-_ZL20rocblas_trmvt_kernelILi512ELb1ELb0ELb1EPKPK19rocblas_complex_numIfEPKPS1_S6_EviT3_lllT4_lllT5_li
                                        ; -- End function
	.set _ZL20rocblas_trmvt_kernelILi512ELb1ELb0ELb1EPKPK19rocblas_complex_numIfEPKPS1_S6_EviT3_lllT4_lllT5_li.num_vgpr, 30
	.set _ZL20rocblas_trmvt_kernelILi512ELb1ELb0ELb1EPKPK19rocblas_complex_numIfEPKPS1_S6_EviT3_lllT4_lllT5_li.num_agpr, 0
	.set _ZL20rocblas_trmvt_kernelILi512ELb1ELb0ELb1EPKPK19rocblas_complex_numIfEPKPS1_S6_EviT3_lllT4_lllT5_li.numbered_sgpr, 32
	.set _ZL20rocblas_trmvt_kernelILi512ELb1ELb0ELb1EPKPK19rocblas_complex_numIfEPKPS1_S6_EviT3_lllT4_lllT5_li.num_named_barrier, 0
	.set _ZL20rocblas_trmvt_kernelILi512ELb1ELb0ELb1EPKPK19rocblas_complex_numIfEPKPS1_S6_EviT3_lllT4_lllT5_li.private_seg_size, 0
	.set _ZL20rocblas_trmvt_kernelILi512ELb1ELb0ELb1EPKPK19rocblas_complex_numIfEPKPS1_S6_EviT3_lllT4_lllT5_li.uses_vcc, 1
	.set _ZL20rocblas_trmvt_kernelILi512ELb1ELb0ELb1EPKPK19rocblas_complex_numIfEPKPS1_S6_EviT3_lllT4_lllT5_li.uses_flat_scratch, 0
	.set _ZL20rocblas_trmvt_kernelILi512ELb1ELb0ELb1EPKPK19rocblas_complex_numIfEPKPS1_S6_EviT3_lllT4_lllT5_li.has_dyn_sized_stack, 0
	.set _ZL20rocblas_trmvt_kernelILi512ELb1ELb0ELb1EPKPK19rocblas_complex_numIfEPKPS1_S6_EviT3_lllT4_lllT5_li.has_recursion, 0
	.set _ZL20rocblas_trmvt_kernelILi512ELb1ELb0ELb1EPKPK19rocblas_complex_numIfEPKPS1_S6_EviT3_lllT4_lllT5_li.has_indirect_call, 0
	.section	.AMDGPU.csdata,"",@progbits
; Kernel info:
; codeLenInByte = 1204
; TotalNumSgprs: 34
; NumVgprs: 30
; ScratchSize: 0
; MemoryBound: 0
; FloatMode: 240
; IeeeMode: 1
; LDSByteSize: 256 bytes/workgroup (compile time only)
; SGPRBlocks: 0
; VGPRBlocks: 1
; NumSGPRsForWavesPerEU: 34
; NumVGPRsForWavesPerEU: 30
; NamedBarCnt: 0
; Occupancy: 16
; WaveLimiterHint : 1
; COMPUTE_PGM_RSRC2:SCRATCH_EN: 0
; COMPUTE_PGM_RSRC2:USER_SGPR: 2
; COMPUTE_PGM_RSRC2:TRAP_HANDLER: 0
; COMPUTE_PGM_RSRC2:TGID_X_EN: 1
; COMPUTE_PGM_RSRC2:TGID_Y_EN: 0
; COMPUTE_PGM_RSRC2:TGID_Z_EN: 1
; COMPUTE_PGM_RSRC2:TIDIG_COMP_CNT: 0
	.section	.text._ZL20rocblas_trmvt_kernelILi512ELb1ELb1ELb1EPKPK19rocblas_complex_numIfEPKPS1_S6_EviT3_lllT4_lllT5_li,"axG",@progbits,_ZL20rocblas_trmvt_kernelILi512ELb1ELb1ELb1EPKPK19rocblas_complex_numIfEPKPS1_S6_EviT3_lllT4_lllT5_li,comdat
	.globl	_ZL20rocblas_trmvt_kernelILi512ELb1ELb1ELb1EPKPK19rocblas_complex_numIfEPKPS1_S6_EviT3_lllT4_lllT5_li ; -- Begin function _ZL20rocblas_trmvt_kernelILi512ELb1ELb1ELb1EPKPK19rocblas_complex_numIfEPKPS1_S6_EviT3_lllT4_lllT5_li
	.p2align	8
	.type	_ZL20rocblas_trmvt_kernelILi512ELb1ELb1ELb1EPKPK19rocblas_complex_numIfEPKPS1_S6_EviT3_lllT4_lllT5_li,@function
_ZL20rocblas_trmvt_kernelILi512ELb1ELb1ELb1EPKPK19rocblas_complex_numIfEPKPS1_S6_EviT3_lllT4_lllT5_li: ; @_ZL20rocblas_trmvt_kernelILi512ELb1ELb1ELb1EPKPK19rocblas_complex_numIfEPKPS1_S6_EviT3_lllT4_lllT5_li
; %bb.0:
	s_load_b32 s24, s[0:1], 0x58
	s_bfe_u32 s2, ttmp6, 0x40014
	s_lshr_b32 s3, ttmp7, 16
	s_add_co_i32 s2, s2, 1
	s_bfe_u32 s5, ttmp6, 0x40008
	s_mul_i32 s4, s3, s2
	s_getreg_b32 s2, hwreg(HW_REG_IB_STS2, 6, 4)
	s_add_co_i32 s5, s5, s4
	s_cmp_eq_u32 s2, 0
	s_mov_b32 s17, 0
	s_cselect_b32 s16, s3, s5
	s_wait_kmcnt 0x0
	s_cmp_ge_u32 s16, s24
	s_cbranch_scc1 .LBB80_21
; %bb.1:
	s_clause 0x5
	s_load_b32 s25, s[0:1], 0x0
	s_load_b64 s[20:21], s[0:1], 0x38
	s_load_b128 s[8:11], s[0:1], 0x8
	s_load_b64 s[22:23], s[0:1], 0x18
	s_load_b128 s[12:15], s[0:1], 0x28
	s_load_b128 s[4:7], s[0:1], 0x48
	s_wait_xcnt 0x0
	s_bfe_u32 s0, ttmp6, 0x4000c
	s_and_b32 s1, ttmp6, 15
	s_add_co_i32 s0, s0, 1
	v_mbcnt_lo_u32_b32 v2, -1, 0
	s_mul_i32 s0, ttmp9, s0
	v_cmp_eq_u32_e32 vcc_lo, 0, v0
	s_add_co_i32 s1, s1, s0
	s_cmp_eq_u32 s2, 0
	v_cmp_gt_u32_e64 s2, 24, v2
	s_cselect_b32 s18, ttmp9, s1
	v_lshl_or_b32 v16, v2, 2, 64
	s_ashr_i32 s19, s18, 31
	v_cmp_gt_u32_e64 s1, 32, v0
	v_cndmask_b32_e64 v5, 0, 8, s2
	s_wait_kmcnt 0x0
	v_cmp_gt_i32_e64 s0, s25, v0
	v_mov_b32_e32 v3, 0
	v_cmp_gt_u32_e64 s2, 28, v2
	s_mul_u64 s[22:23], s[22:23], s[18:19]
	v_add_lshl_u32 v17, v5, v2, 2
	v_dual_cndmask_b32 v4, 0, v0, s0 :: v_dual_mov_b32 v1, v3
	v_and_b32_e32 v6, 31, v0
	v_cndmask_b32_e64 v7, 0, 4, s2
	v_cmp_gt_u32_e64 s2, 30, v2
	s_lshl_b64 s[10:11], s[10:11], 3
	v_mul_u64_e32 v[8:9], s[20:21], v[0:1]
	v_lshlrev_b32_e32 v1, 3, v6
	v_add_lshl_u32 v18, v7, v2, 2
	v_cndmask_b32_e64 v10, 0, 2, s2
	v_cmp_ne_u32_e64 s2, 31, v2
	s_mul_u64 s[26:27], s[20:21], s[18:19]
	s_lshl_b64 s[20:21], s[20:21], 12
	v_add_lshl_u32 v19, v10, v2, 2
	v_add_co_ci_u32_e64 v5, null, 0, v2, s2
	v_lshlrev_b32_e32 v2, 3, v4
	s_lshl_b64 s[2:3], s[22:23], 3
	s_delay_alu instid0(VALU_DEP_2)
	v_dual_lshrrev_b32 v7, 2, v0 :: v_dual_lshlrev_b32 v20, 2, v5
	s_add_nc_u64 s[2:3], s[2:3], s[10:11]
	s_lshl_b64 s[10:11], s[14:15], 3
	v_add_nc_u64_e32 v[4:5], s[2:3], v[2:3]
	v_cmp_eq_u32_e64 s2, 0, v6
	v_and_b32_e32 v2, 0x78, v7
	v_mov_b64_e32 v[6:7], 0
	v_cmp_gt_u32_e64 s3, 16, v0
	s_lshl_b64 s[22:23], s[18:19], 3
	v_or_b32_e32 v4, 4, v4
	s_add_nc_u64 s[14:15], s[4:5], s[22:23]
	s_lshl_b64 s[22:23], s[26:27], 3
	v_lshl_add_u64 v[8:9], v[8:9], 3, s[10:11]
	s_branch .LBB80_3
.LBB80_2:                               ;   in Loop: Header=BB80_3 Depth=1
	s_wait_xcnt 0x0
	s_or_b32 exec_lo, exec_lo, s4
	s_add_co_i32 s16, s16, 0x10000
	s_delay_alu instid0(SALU_CYCLE_1)
	s_cmp_lt_u32 s16, s24
	s_cbranch_scc0 .LBB80_21
.LBB80_3:                               ; =>This Loop Header: Depth=1
                                        ;     Child Loop BB80_15 Depth 2
	s_wait_dscnt 0x0
	v_mov_b32_e32 v10, s16
	s_clause 0x1
	global_load_b64 v[12:13], v10, s[8:9] scale_offset
	global_load_b64 v[14:15], v10, s[12:13] scale_offset
	s_wait_xcnt 0x0
	v_mov_b64_e32 v[10:11], 0
	s_and_saveexec_b32 s4, vcc_lo
	s_cbranch_execnz .LBB80_12
; %bb.4:                                ;   in Loop: Header=BB80_3 Depth=1
	s_or_b32 exec_lo, exec_lo, s4
	s_and_saveexec_b32 s5, s0
	s_cbranch_execnz .LBB80_13
.LBB80_5:                               ;   in Loop: Header=BB80_3 Depth=1
	s_or_b32 exec_lo, exec_lo, s5
	s_and_saveexec_b32 s4, s1
.LBB80_6:                               ;   in Loop: Header=BB80_3 Depth=1
	ds_store_b64 v1, v[6:7]
.LBB80_7:                               ;   in Loop: Header=BB80_3 Depth=1
	s_or_b32 exec_lo, exec_lo, s4
	s_wait_loadcnt 0x1
	ds_bpermute_b32 v12, v16, v10
	ds_bpermute_b32 v13, v16, v11
	s_wait_loadcnt_dscnt 0x0
	s_barrier_signal -1
	s_barrier_wait -1
	v_pk_add_f32 v[10:11], v[10:11], v[12:13]
	ds_bpermute_b32 v12, v17, v10
	ds_bpermute_b32 v13, v17, v11
	s_wait_dscnt 0x0
	v_pk_add_f32 v[10:11], v[10:11], v[12:13]
	ds_bpermute_b32 v12, v18, v10
	ds_bpermute_b32 v13, v18, v11
	s_wait_dscnt 0x0
	;; [unrolled: 4-line block ×3, first 2 shown]
	v_pk_add_f32 v[10:11], v[10:11], v[12:13]
	ds_bpermute_b32 v12, v20, v10
	ds_bpermute_b32 v13, v20, v11
	s_and_saveexec_b32 s4, s2
	s_cbranch_execz .LBB80_9
; %bb.8:                                ;   in Loop: Header=BB80_3 Depth=1
	s_wait_dscnt 0x0
	v_pk_add_f32 v[10:11], v[10:11], v[12:13]
	ds_store_b64 v2, v[10:11]
.LBB80_9:                               ;   in Loop: Header=BB80_3 Depth=1
	s_or_b32 exec_lo, exec_lo, s4
	v_mov_b64_e32 v[10:11], 0
	s_wait_dscnt 0x0
	s_barrier_signal -1
	s_barrier_wait -1
	s_and_saveexec_b32 s4, s3
	s_cbranch_execnz .LBB80_17
; %bb.10:                               ;   in Loop: Header=BB80_3 Depth=1
	s_or_b32 exec_lo, exec_lo, s4
	s_and_saveexec_b32 s4, s1
	s_cbranch_execnz .LBB80_18
.LBB80_11:                              ;   in Loop: Header=BB80_3 Depth=1
	s_or_b32 exec_lo, exec_lo, s4
	s_and_saveexec_b32 s4, vcc_lo
	s_cbranch_execz .LBB80_2
	s_branch .LBB80_19
.LBB80_12:                              ;   in Loop: Header=BB80_3 Depth=1
	s_wait_loadcnt 0x0
	v_add_nc_u64_e32 v[10:11], s[10:11], v[14:15]
	s_delay_alu instid0(VALU_DEP_1)
	v_add_nc_u64_e32 v[10:11], s[22:23], v[10:11]
	flat_load_b64 v[10:11], v[10:11]
	s_wait_loadcnt_dscnt 0x0
	s_wait_xcnt 0x0
	v_pk_add_f32 v[10:11], v[10:11], 0 op_sel_hi:[1,0]
	s_or_b32 exec_lo, exec_lo, s4
	s_and_saveexec_b32 s5, s0
	s_cbranch_execz .LBB80_5
.LBB80_13:                              ;   in Loop: Header=BB80_3 Depth=1
	s_wait_loadcnt 0x1
	v_add_nc_u64_e32 v[12:13], v[12:13], v[4:5]
	s_wait_loadcnt 0x0
	v_add_nc_u64_e32 v[14:15], v[14:15], v[8:9]
	v_mov_b32_e32 v21, v0
	s_mov_b32 s19, 0
	s_branch .LBB80_15
.LBB80_14:                              ;   in Loop: Header=BB80_15 Depth=2
	s_wait_xcnt 0x0
	s_or_b32 exec_lo, exec_lo, s26
	v_add_nc_u32_e32 v21, 0x200, v21
	v_add_nc_u64_e32 v[12:13], 0x1000, v[12:13]
	v_add_nc_u64_e32 v[14:15], s[20:21], v[14:15]
	s_delay_alu instid0(VALU_DEP_3) | instskip(SKIP_1) | instid1(SALU_CYCLE_1)
	v_cmp_le_i32_e64 s4, s25, v21
	s_or_b32 s19, s4, s19
	s_and_not1_b32 exec_lo, exec_lo, s19
	s_cbranch_execz .LBB80_20
.LBB80_15:                              ;   Parent Loop BB80_3 Depth=1
                                        ; =>  This Inner Loop Header: Depth=2
	s_mov_b32 s26, exec_lo
	s_delay_alu instid0(VALU_DEP_1)
	v_cmpx_lt_i32_e64 s18, v21
	s_cbranch_execz .LBB80_14
; %bb.16:                               ;   in Loop: Header=BB80_15 Depth=2
	flat_load_b64 v[22:23], v[12:13] offset:-4
	flat_load_b64 v[24:25], v[14:15]
	s_wait_loadcnt_dscnt 0x0
	v_pk_mul_f32 v[26:27], v[22:23], v[24:25] op_sel:[1,1] op_sel_hi:[1,0]
	s_delay_alu instid0(VALU_DEP_1) | instskip(SKIP_1) | instid1(VALU_DEP_2)
	v_pk_fma_f32 v[28:29], v[22:23], v[24:25], v[26:27] op_sel_hi:[0,1,1] neg_lo:[0,0,1] neg_hi:[0,0,1]
	v_pk_fma_f32 v[22:23], v[22:23], v[24:25], v[26:27]
	v_mov_b32_e32 v23, v29
	s_delay_alu instid0(VALU_DEP_1)
	v_pk_add_f32 v[10:11], v[10:11], v[22:23]
	s_branch .LBB80_14
.LBB80_17:                              ;   in Loop: Header=BB80_3 Depth=1
	ds_load_b64 v[10:11], v1
	s_or_b32 exec_lo, exec_lo, s4
	s_and_saveexec_b32 s4, s1
	s_cbranch_execz .LBB80_11
.LBB80_18:                              ;   in Loop: Header=BB80_3 Depth=1
	s_wait_dscnt 0x0
	ds_bpermute_b32 v12, v17, v10
	ds_bpermute_b32 v13, v17, v11
	s_wait_dscnt 0x0
	v_pk_add_f32 v[10:11], v[10:11], v[12:13]
	ds_bpermute_b32 v12, v18, v10
	ds_bpermute_b32 v13, v18, v11
	s_wait_dscnt 0x0
	v_pk_add_f32 v[10:11], v[10:11], v[12:13]
	;; [unrolled: 4-line block ×4, first 2 shown]
	s_or_b32 exec_lo, exec_lo, s4
	s_and_saveexec_b32 s4, vcc_lo
	s_cbranch_execz .LBB80_2
.LBB80_19:                              ;   in Loop: Header=BB80_3 Depth=1
	s_mul_u64 s[26:27], s[6:7], s[16:17]
	s_delay_alu instid0(SALU_CYCLE_1) | instskip(NEXT) | instid1(SALU_CYCLE_1)
	s_lshl_b64 s[26:27], s[26:27], 3
	s_add_nc_u64 s[26:27], s[14:15], s[26:27]
	s_wait_dscnt 0x0
	global_store_b64 v3, v[10:11], s[26:27]
	s_branch .LBB80_2
.LBB80_20:                              ;   in Loop: Header=BB80_3 Depth=1
	s_or_b32 exec_lo, exec_lo, s19
	s_delay_alu instid0(SALU_CYCLE_1)
	s_or_b32 exec_lo, exec_lo, s5
	s_and_saveexec_b32 s4, s1
	s_cbranch_execnz .LBB80_6
	s_branch .LBB80_7
.LBB80_21:
	s_endpgm
	.section	.rodata,"a",@progbits
	.p2align	6, 0x0
	.amdhsa_kernel _ZL20rocblas_trmvt_kernelILi512ELb1ELb1ELb1EPKPK19rocblas_complex_numIfEPKPS1_S6_EviT3_lllT4_lllT5_li
		.amdhsa_group_segment_fixed_size 256
		.amdhsa_private_segment_fixed_size 0
		.amdhsa_kernarg_size 92
		.amdhsa_user_sgpr_count 2
		.amdhsa_user_sgpr_dispatch_ptr 0
		.amdhsa_user_sgpr_queue_ptr 0
		.amdhsa_user_sgpr_kernarg_segment_ptr 1
		.amdhsa_user_sgpr_dispatch_id 0
		.amdhsa_user_sgpr_kernarg_preload_length 0
		.amdhsa_user_sgpr_kernarg_preload_offset 0
		.amdhsa_user_sgpr_private_segment_size 0
		.amdhsa_wavefront_size32 1
		.amdhsa_uses_dynamic_stack 0
		.amdhsa_enable_private_segment 0
		.amdhsa_system_sgpr_workgroup_id_x 1
		.amdhsa_system_sgpr_workgroup_id_y 0
		.amdhsa_system_sgpr_workgroup_id_z 1
		.amdhsa_system_sgpr_workgroup_info 0
		.amdhsa_system_vgpr_workitem_id 0
		.amdhsa_next_free_vgpr 30
		.amdhsa_next_free_sgpr 28
		.amdhsa_named_barrier_count 0
		.amdhsa_reserve_vcc 1
		.amdhsa_float_round_mode_32 0
		.amdhsa_float_round_mode_16_64 0
		.amdhsa_float_denorm_mode_32 3
		.amdhsa_float_denorm_mode_16_64 3
		.amdhsa_fp16_overflow 0
		.amdhsa_memory_ordered 1
		.amdhsa_forward_progress 1
		.amdhsa_inst_pref_size 10
		.amdhsa_round_robin_scheduling 0
		.amdhsa_exception_fp_ieee_invalid_op 0
		.amdhsa_exception_fp_denorm_src 0
		.amdhsa_exception_fp_ieee_div_zero 0
		.amdhsa_exception_fp_ieee_overflow 0
		.amdhsa_exception_fp_ieee_underflow 0
		.amdhsa_exception_fp_ieee_inexact 0
		.amdhsa_exception_int_div_zero 0
	.end_amdhsa_kernel
	.section	.text._ZL20rocblas_trmvt_kernelILi512ELb1ELb1ELb1EPKPK19rocblas_complex_numIfEPKPS1_S6_EviT3_lllT4_lllT5_li,"axG",@progbits,_ZL20rocblas_trmvt_kernelILi512ELb1ELb1ELb1EPKPK19rocblas_complex_numIfEPKPS1_S6_EviT3_lllT4_lllT5_li,comdat
.Lfunc_end80:
	.size	_ZL20rocblas_trmvt_kernelILi512ELb1ELb1ELb1EPKPK19rocblas_complex_numIfEPKPS1_S6_EviT3_lllT4_lllT5_li, .Lfunc_end80-_ZL20rocblas_trmvt_kernelILi512ELb1ELb1ELb1EPKPK19rocblas_complex_numIfEPKPS1_S6_EviT3_lllT4_lllT5_li
                                        ; -- End function
	.set _ZL20rocblas_trmvt_kernelILi512ELb1ELb1ELb1EPKPK19rocblas_complex_numIfEPKPS1_S6_EviT3_lllT4_lllT5_li.num_vgpr, 30
	.set _ZL20rocblas_trmvt_kernelILi512ELb1ELb1ELb1EPKPK19rocblas_complex_numIfEPKPS1_S6_EviT3_lllT4_lllT5_li.num_agpr, 0
	.set _ZL20rocblas_trmvt_kernelILi512ELb1ELb1ELb1EPKPK19rocblas_complex_numIfEPKPS1_S6_EviT3_lllT4_lllT5_li.numbered_sgpr, 28
	.set _ZL20rocblas_trmvt_kernelILi512ELb1ELb1ELb1EPKPK19rocblas_complex_numIfEPKPS1_S6_EviT3_lllT4_lllT5_li.num_named_barrier, 0
	.set _ZL20rocblas_trmvt_kernelILi512ELb1ELb1ELb1EPKPK19rocblas_complex_numIfEPKPS1_S6_EviT3_lllT4_lllT5_li.private_seg_size, 0
	.set _ZL20rocblas_trmvt_kernelILi512ELb1ELb1ELb1EPKPK19rocblas_complex_numIfEPKPS1_S6_EviT3_lllT4_lllT5_li.uses_vcc, 1
	.set _ZL20rocblas_trmvt_kernelILi512ELb1ELb1ELb1EPKPK19rocblas_complex_numIfEPKPS1_S6_EviT3_lllT4_lllT5_li.uses_flat_scratch, 0
	.set _ZL20rocblas_trmvt_kernelILi512ELb1ELb1ELb1EPKPK19rocblas_complex_numIfEPKPS1_S6_EviT3_lllT4_lllT5_li.has_dyn_sized_stack, 0
	.set _ZL20rocblas_trmvt_kernelILi512ELb1ELb1ELb1EPKPK19rocblas_complex_numIfEPKPS1_S6_EviT3_lllT4_lllT5_li.has_recursion, 0
	.set _ZL20rocblas_trmvt_kernelILi512ELb1ELb1ELb1EPKPK19rocblas_complex_numIfEPKPS1_S6_EviT3_lllT4_lllT5_li.has_indirect_call, 0
	.section	.AMDGPU.csdata,"",@progbits
; Kernel info:
; codeLenInByte = 1204
; TotalNumSgprs: 30
; NumVgprs: 30
; ScratchSize: 0
; MemoryBound: 0
; FloatMode: 240
; IeeeMode: 1
; LDSByteSize: 256 bytes/workgroup (compile time only)
; SGPRBlocks: 0
; VGPRBlocks: 1
; NumSGPRsForWavesPerEU: 30
; NumVGPRsForWavesPerEU: 30
; NamedBarCnt: 0
; Occupancy: 16
; WaveLimiterHint : 1
; COMPUTE_PGM_RSRC2:SCRATCH_EN: 0
; COMPUTE_PGM_RSRC2:USER_SGPR: 2
; COMPUTE_PGM_RSRC2:TRAP_HANDLER: 0
; COMPUTE_PGM_RSRC2:TGID_X_EN: 1
; COMPUTE_PGM_RSRC2:TGID_Y_EN: 0
; COMPUTE_PGM_RSRC2:TGID_Z_EN: 1
; COMPUTE_PGM_RSRC2:TIDIG_COMP_CNT: 0
	.section	.text._ZL20rocblas_trmvn_kernelILi64ELi16ELb1ELb0EPKPK19rocblas_complex_numIfEPKPS1_S6_EviT3_lllT4_lllT5_li,"axG",@progbits,_ZL20rocblas_trmvn_kernelILi64ELi16ELb1ELb0EPKPK19rocblas_complex_numIfEPKPS1_S6_EviT3_lllT4_lllT5_li,comdat
	.globl	_ZL20rocblas_trmvn_kernelILi64ELi16ELb1ELb0EPKPK19rocblas_complex_numIfEPKPS1_S6_EviT3_lllT4_lllT5_li ; -- Begin function _ZL20rocblas_trmvn_kernelILi64ELi16ELb1ELb0EPKPK19rocblas_complex_numIfEPKPS1_S6_EviT3_lllT4_lllT5_li
	.p2align	8
	.type	_ZL20rocblas_trmvn_kernelILi64ELi16ELb1ELb0EPKPK19rocblas_complex_numIfEPKPS1_S6_EviT3_lllT4_lllT5_li,@function
_ZL20rocblas_trmvn_kernelILi64ELi16ELb1ELb0EPKPK19rocblas_complex_numIfEPKPS1_S6_EviT3_lllT4_lllT5_li: ; @_ZL20rocblas_trmvn_kernelILi64ELi16ELb1ELb0EPKPK19rocblas_complex_numIfEPKPS1_S6_EviT3_lllT4_lllT5_li
; %bb.0:
	s_load_b32 s3, s[0:1], 0x58
	s_bfe_u32 s2, ttmp6, 0x40014
	s_lshr_b32 s4, ttmp7, 16
	s_add_co_i32 s2, s2, 1
	s_bfe_u32 s6, ttmp6, 0x40008
	s_mul_i32 s5, s4, s2
	s_getreg_b32 s2, hwreg(HW_REG_IB_STS2, 6, 4)
	s_add_co_i32 s6, s6, s5
	s_cmp_eq_u32 s2, 0
	s_mov_b32 s17, 0
	s_cselect_b32 s16, s4, s6
	s_wait_kmcnt 0x0
	s_cmp_ge_u32 s16, s3
	s_cbranch_scc1 .LBB81_14
; %bb.1:
	s_clause 0x2
	s_load_b32 s4, s[0:1], 0x6c
	s_load_b64 s[18:19], s[0:1], 0x18
	s_load_b64 s[22:23], s[0:1], 0x38
	s_bfe_u32 s5, ttmp6, 0x4000c
	s_and_b32 s6, ttmp6, 15
	s_add_co_i32 s5, s5, 1
	v_and_b32_e32 v10, 0x3ff, v0
	s_mul_i32 s5, ttmp9, s5
	v_bfe_u32 v2, v0, 10, 10
	s_add_co_i32 s8, s6, s5
	s_load_b128 s[12:15], s[0:1], 0x8
	v_lshlrev_b32_e32 v16, 3, v10
	s_delay_alu instid0(VALU_DEP_2)
	v_lshlrev_b32_e32 v17, 9, v2
	s_wait_kmcnt 0x0
	s_and_b32 s21, s4, 0xffff
	s_cmp_eq_u32 s2, 0
	s_load_b128 s[4:7], s[0:1], 0x28
	s_cselect_b32 s2, ttmp9, s8
	s_clause 0x1
	s_load_b32 s20, s[0:1], 0x0
	s_load_b128 s[8:11], s[0:1], 0x48
	v_lshl_add_u32 v0, s2, 6, v10
	v_mov_b32_e32 v3, 0
	v_mad_u32_u24 v19, v2, s21, v10
	v_mul_u32_u24_e32 v18, s21, v2
	v_cmp_eq_u32_e64 s2, 0, v2
	v_ashrrev_i32_e32 v1, 31, v0
	v_mul_u64_e32 v[8:9], s[18:19], v[2:3]
	v_mul_u64_e32 v[12:13], s[22:23], v[2:3]
	s_wait_xcnt 0x0
	v_cmp_gt_u32_e64 s1, 64, v19
	s_lshl_b64 s[14:15], s[14:15], 3
	v_mad_nc_u64_u32 v[4:5], v0, s18, v[0:1]
	v_mul_u64_e32 v[6:7], s[22:23], v[0:1]
	v_lshlrev_b64_e32 v[10:11], 3, v[0:1]
	s_wait_kmcnt 0x0
	s_lshl_b64 s[6:7], s[6:7], 3
	v_cmp_gt_i32_e64 s0, s20, v0
	v_cmp_gt_i32_e32 vcc_lo, s20, v2
	v_mad_u32 v3, v1, s18, v5
	v_lshl_add_u32 v1, v18, 3, v16
	s_and_b32 s21, s2, s0
	s_delay_alu instid0(VALU_DEP_2)
	v_mad_u32 v5, v0, s19, v3
	v_add_nc_u32_e32 v3, v16, v17
	s_lshl_b64 s[18:19], s[18:19], 7
	v_lshl_add_u64 v[14:15], v[8:9], 3, s[14:15]
	v_add_nc_u64_e32 v[8:9], s[8:9], v[10:11]
	v_lshl_add_u64 v[12:13], v[12:13], 3, s[6:7]
	s_lshl_b64 s[8:9], s[22:23], 7
	s_delay_alu instid0(VALU_DEP_3)
	v_add_nc_u64_e32 v[10:11], v[14:15], v[10:11]
	s_branch .LBB81_3
.LBB81_2:                               ;   in Loop: Header=BB81_3 Depth=1
	s_wait_xcnt 0x0
	s_or_b32 exec_lo, exec_lo, s2
	s_add_co_i32 s16, s16, 0x10000
	s_delay_alu instid0(SALU_CYCLE_1)
	s_cmp_lt_u32 s16, s3
	s_cbranch_scc0 .LBB81_14
.LBB81_3:                               ; =>This Loop Header: Depth=1
                                        ;     Child Loop BB81_8 Depth 2
	v_mov_b32_e32 v14, s16
	s_clause 0x1
	global_load_b64 v[18:19], v14, s[12:13] scale_offset
	global_load_b64 v[16:17], v14, s[4:5] scale_offset
	s_wait_xcnt 0x0
	v_mov_b64_e32 v[14:15], 0
	s_and_saveexec_b32 s2, s21
	s_cbranch_execz .LBB81_5
; %bb.4:                                ;   in Loop: Header=BB81_3 Depth=1
	s_wait_loadcnt 0x1
	v_add_nc_u64_e32 v[14:15], s[14:15], v[18:19]
	s_wait_loadcnt 0x0
	v_add_nc_u64_e32 v[20:21], s[6:7], v[16:17]
	s_delay_alu instid0(VALU_DEP_2) | instskip(NEXT) | instid1(VALU_DEP_2)
	v_lshl_add_u64 v[14:15], v[4:5], 3, v[14:15]
	v_lshl_add_u64 v[20:21], v[6:7], 3, v[20:21]
	flat_load_b64 v[22:23], v[14:15]
	flat_load_b64 v[24:25], v[20:21]
	s_wait_loadcnt_dscnt 0x0
	s_wait_xcnt 0x1
	v_pk_mul_f32 v[14:15], v[24:25], v[22:23] op_sel:[1,1] op_sel_hi:[0,1]
	s_wait_xcnt 0x0
	s_delay_alu instid0(VALU_DEP_1) | instskip(SKIP_1) | instid1(VALU_DEP_2)
	v_pk_fma_f32 v[20:21], v[24:25], v[22:23], v[14:15] op_sel_hi:[1,0,1]
	v_pk_fma_f32 v[14:15], v[24:25], v[22:23], v[14:15] neg_lo:[0,0,1] neg_hi:[0,0,1]
	v_mov_b32_e32 v15, v21
.LBB81_5:                               ;   in Loop: Header=BB81_3 Depth=1
	s_or_b32 exec_lo, exec_lo, s2
	s_and_saveexec_b32 s22, vcc_lo
	s_cbranch_execz .LBB81_11
; %bb.6:                                ;   in Loop: Header=BB81_3 Depth=1
	s_wait_loadcnt 0x0
	v_add_nc_u64_e32 v[16:17], v[16:17], v[12:13]
	v_add_nc_u64_e32 v[18:19], v[18:19], v[10:11]
	v_mov_b32_e32 v20, v2
	s_mov_b32 s23, 0
	s_branch .LBB81_8
.LBB81_7:                               ;   in Loop: Header=BB81_8 Depth=2
	s_wait_xcnt 0x0
	s_or_b32 exec_lo, exec_lo, s2
	v_add_nc_u32_e32 v20, 16, v20
	v_add_nc_u64_e32 v[16:17], s[8:9], v[16:17]
	v_add_nc_u64_e32 v[18:19], s[18:19], v[18:19]
	s_delay_alu instid0(VALU_DEP_3) | instskip(SKIP_1) | instid1(SALU_CYCLE_1)
	v_cmp_le_i32_e64 s2, s20, v20
	s_or_b32 s23, s2, s23
	s_and_not1_b32 exec_lo, exec_lo, s23
	s_cbranch_execz .LBB81_10
.LBB81_8:                               ;   Parent Loop BB81_3 Depth=1
                                        ; =>  This Inner Loop Header: Depth=2
	s_delay_alu instid0(VALU_DEP_1) | instskip(SKIP_1) | instid1(SALU_CYCLE_1)
	v_cmp_lt_i32_e64 s2, v20, v0
	s_and_b32 s24, s0, s2
	s_and_saveexec_b32 s2, s24
	s_cbranch_execz .LBB81_7
; %bb.9:                                ;   in Loop: Header=BB81_8 Depth=2
	flat_load_b64 v[22:23], v[18:19]
	flat_load_b64 v[24:25], v[16:17]
	s_wait_loadcnt_dscnt 0x0
	v_pk_mul_f32 v[26:27], v[24:25], v[22:23] op_sel:[1,1] op_sel_hi:[0,1]
	s_delay_alu instid0(VALU_DEP_1) | instskip(SKIP_1) | instid1(VALU_DEP_2)
	v_pk_fma_f32 v[28:29], v[24:25], v[22:23], v[26:27] op_sel_hi:[1,0,1]
	v_pk_fma_f32 v[22:23], v[24:25], v[22:23], v[26:27] neg_lo:[0,0,1] neg_hi:[0,0,1]
	v_mov_b32_e32 v23, v29
	s_delay_alu instid0(VALU_DEP_1)
	v_pk_add_f32 v[14:15], v[14:15], v[22:23]
	s_branch .LBB81_7
.LBB81_10:                              ;   in Loop: Header=BB81_3 Depth=1
	s_or_b32 exec_lo, exec_lo, s23
.LBB81_11:                              ;   in Loop: Header=BB81_3 Depth=1
	s_delay_alu instid0(SALU_CYCLE_1)
	s_or_b32 exec_lo, exec_lo, s22
	ds_store_b64 v3, v[14:15]
	s_wait_loadcnt_dscnt 0x0
	s_barrier_signal -1
	s_barrier_wait -1
	s_and_saveexec_b32 s2, s1
	s_cbranch_execz .LBB81_2
; %bb.12:                               ;   in Loop: Header=BB81_3 Depth=1
	ds_load_2addr_stride64_b64 v[14:17], v1 offset1:1
	ds_load_2addr_stride64_b64 v[18:21], v1 offset0:2 offset1:3
	ds_load_2addr_stride64_b64 v[22:25], v1 offset0:4 offset1:5
	s_wait_dscnt 0x2
	v_pk_add_f32 v[26:27], v[14:15], v[16:17]
	ds_load_2addr_stride64_b64 v[14:17], v1 offset0:6 offset1:7
	s_wait_dscnt 0x2
	v_pk_add_f32 v[18:19], v[26:27], v[18:19]
	s_delay_alu instid0(VALU_DEP_1) | instskip(SKIP_3) | instid1(VALU_DEP_1)
	v_pk_add_f32 v[26:27], v[18:19], v[20:21]
	ds_load_2addr_stride64_b64 v[18:21], v1 offset0:8 offset1:9
	s_wait_dscnt 0x2
	v_pk_add_f32 v[22:23], v[26:27], v[22:23]
	v_pk_add_f32 v[26:27], v[22:23], v[24:25]
	ds_load_2addr_stride64_b64 v[22:25], v1 offset0:10 offset1:11
	s_wait_dscnt 0x2
	v_pk_add_f32 v[14:15], v[26:27], v[14:15]
	s_delay_alu instid0(VALU_DEP_1) | instskip(SKIP_1) | instid1(VALU_DEP_1)
	v_pk_add_f32 v[14:15], v[14:15], v[16:17]
	s_wait_dscnt 0x1
	v_pk_add_f32 v[18:19], v[14:15], v[18:19]
	ds_load_2addr_stride64_b64 v[14:17], v1 offset0:12 offset1:13
	v_pk_add_f32 v[18:19], v[18:19], v[20:21]
	s_wait_dscnt 0x1
	s_delay_alu instid0(VALU_DEP_1) | instskip(SKIP_3) | instid1(VALU_DEP_1)
	v_pk_add_f32 v[22:23], v[18:19], v[22:23]
	ds_load_2addr_stride64_b64 v[18:21], v1 offset0:14 offset1:15
	v_pk_add_f32 v[22:23], v[22:23], v[24:25]
	s_wait_dscnt 0x1
	v_pk_add_f32 v[14:15], v[22:23], v[14:15]
	s_delay_alu instid0(VALU_DEP_1) | instskip(SKIP_1) | instid1(VALU_DEP_1)
	v_pk_add_f32 v[14:15], v[14:15], v[16:17]
	s_wait_dscnt 0x0
	v_pk_add_f32 v[14:15], v[14:15], v[18:19]
	s_delay_alu instid0(VALU_DEP_1)
	v_pk_add_f32 v[14:15], v[14:15], v[20:21]
	ds_store_b64 v1, v[14:15]
	s_and_b32 exec_lo, exec_lo, s0
	s_cbranch_execz .LBB81_2
; %bb.13:                               ;   in Loop: Header=BB81_3 Depth=1
	s_mul_u64 s[22:23], s[10:11], s[16:17]
	s_delay_alu instid0(SALU_CYCLE_1)
	v_lshl_add_u64 v[16:17], s[22:23], 3, v[8:9]
	global_store_b64 v[16:17], v[14:15], off
	s_branch .LBB81_2
.LBB81_14:
	s_endpgm
	.section	.rodata,"a",@progbits
	.p2align	6, 0x0
	.amdhsa_kernel _ZL20rocblas_trmvn_kernelILi64ELi16ELb1ELb0EPKPK19rocblas_complex_numIfEPKPS1_S6_EviT3_lllT4_lllT5_li
		.amdhsa_group_segment_fixed_size 8192
		.amdhsa_private_segment_fixed_size 0
		.amdhsa_kernarg_size 352
		.amdhsa_user_sgpr_count 2
		.amdhsa_user_sgpr_dispatch_ptr 0
		.amdhsa_user_sgpr_queue_ptr 0
		.amdhsa_user_sgpr_kernarg_segment_ptr 1
		.amdhsa_user_sgpr_dispatch_id 0
		.amdhsa_user_sgpr_kernarg_preload_length 0
		.amdhsa_user_sgpr_kernarg_preload_offset 0
		.amdhsa_user_sgpr_private_segment_size 0
		.amdhsa_wavefront_size32 1
		.amdhsa_uses_dynamic_stack 0
		.amdhsa_enable_private_segment 0
		.amdhsa_system_sgpr_workgroup_id_x 1
		.amdhsa_system_sgpr_workgroup_id_y 0
		.amdhsa_system_sgpr_workgroup_id_z 1
		.amdhsa_system_sgpr_workgroup_info 0
		.amdhsa_system_vgpr_workitem_id 1
		.amdhsa_next_free_vgpr 30
		.amdhsa_next_free_sgpr 25
		.amdhsa_named_barrier_count 0
		.amdhsa_reserve_vcc 1
		.amdhsa_float_round_mode_32 0
		.amdhsa_float_round_mode_16_64 0
		.amdhsa_float_denorm_mode_32 3
		.amdhsa_float_denorm_mode_16_64 3
		.amdhsa_fp16_overflow 0
		.amdhsa_memory_ordered 1
		.amdhsa_forward_progress 1
		.amdhsa_inst_pref_size 9
		.amdhsa_round_robin_scheduling 0
		.amdhsa_exception_fp_ieee_invalid_op 0
		.amdhsa_exception_fp_denorm_src 0
		.amdhsa_exception_fp_ieee_div_zero 0
		.amdhsa_exception_fp_ieee_overflow 0
		.amdhsa_exception_fp_ieee_underflow 0
		.amdhsa_exception_fp_ieee_inexact 0
		.amdhsa_exception_int_div_zero 0
	.end_amdhsa_kernel
	.section	.text._ZL20rocblas_trmvn_kernelILi64ELi16ELb1ELb0EPKPK19rocblas_complex_numIfEPKPS1_S6_EviT3_lllT4_lllT5_li,"axG",@progbits,_ZL20rocblas_trmvn_kernelILi64ELi16ELb1ELb0EPKPK19rocblas_complex_numIfEPKPS1_S6_EviT3_lllT4_lllT5_li,comdat
.Lfunc_end81:
	.size	_ZL20rocblas_trmvn_kernelILi64ELi16ELb1ELb0EPKPK19rocblas_complex_numIfEPKPS1_S6_EviT3_lllT4_lllT5_li, .Lfunc_end81-_ZL20rocblas_trmvn_kernelILi64ELi16ELb1ELb0EPKPK19rocblas_complex_numIfEPKPS1_S6_EviT3_lllT4_lllT5_li
                                        ; -- End function
	.set _ZL20rocblas_trmvn_kernelILi64ELi16ELb1ELb0EPKPK19rocblas_complex_numIfEPKPS1_S6_EviT3_lllT4_lllT5_li.num_vgpr, 30
	.set _ZL20rocblas_trmvn_kernelILi64ELi16ELb1ELb0EPKPK19rocblas_complex_numIfEPKPS1_S6_EviT3_lllT4_lllT5_li.num_agpr, 0
	.set _ZL20rocblas_trmvn_kernelILi64ELi16ELb1ELb0EPKPK19rocblas_complex_numIfEPKPS1_S6_EviT3_lllT4_lllT5_li.numbered_sgpr, 25
	.set _ZL20rocblas_trmvn_kernelILi64ELi16ELb1ELb0EPKPK19rocblas_complex_numIfEPKPS1_S6_EviT3_lllT4_lllT5_li.num_named_barrier, 0
	.set _ZL20rocblas_trmvn_kernelILi64ELi16ELb1ELb0EPKPK19rocblas_complex_numIfEPKPS1_S6_EviT3_lllT4_lllT5_li.private_seg_size, 0
	.set _ZL20rocblas_trmvn_kernelILi64ELi16ELb1ELb0EPKPK19rocblas_complex_numIfEPKPS1_S6_EviT3_lllT4_lllT5_li.uses_vcc, 1
	.set _ZL20rocblas_trmvn_kernelILi64ELi16ELb1ELb0EPKPK19rocblas_complex_numIfEPKPS1_S6_EviT3_lllT4_lllT5_li.uses_flat_scratch, 0
	.set _ZL20rocblas_trmvn_kernelILi64ELi16ELb1ELb0EPKPK19rocblas_complex_numIfEPKPS1_S6_EviT3_lllT4_lllT5_li.has_dyn_sized_stack, 0
	.set _ZL20rocblas_trmvn_kernelILi64ELi16ELb1ELb0EPKPK19rocblas_complex_numIfEPKPS1_S6_EviT3_lllT4_lllT5_li.has_recursion, 0
	.set _ZL20rocblas_trmvn_kernelILi64ELi16ELb1ELb0EPKPK19rocblas_complex_numIfEPKPS1_S6_EviT3_lllT4_lllT5_li.has_indirect_call, 0
	.section	.AMDGPU.csdata,"",@progbits
; Kernel info:
; codeLenInByte = 1064
; TotalNumSgprs: 27
; NumVgprs: 30
; ScratchSize: 0
; MemoryBound: 0
; FloatMode: 240
; IeeeMode: 1
; LDSByteSize: 8192 bytes/workgroup (compile time only)
; SGPRBlocks: 0
; VGPRBlocks: 1
; NumSGPRsForWavesPerEU: 27
; NumVGPRsForWavesPerEU: 30
; NamedBarCnt: 0
; Occupancy: 16
; WaveLimiterHint : 1
; COMPUTE_PGM_RSRC2:SCRATCH_EN: 0
; COMPUTE_PGM_RSRC2:USER_SGPR: 2
; COMPUTE_PGM_RSRC2:TRAP_HANDLER: 0
; COMPUTE_PGM_RSRC2:TGID_X_EN: 1
; COMPUTE_PGM_RSRC2:TGID_Y_EN: 0
; COMPUTE_PGM_RSRC2:TGID_Z_EN: 1
; COMPUTE_PGM_RSRC2:TIDIG_COMP_CNT: 1
	.section	.text._ZL20rocblas_trmvt_kernelILi512ELb1ELb0ELb0EPKPK19rocblas_complex_numIfEPKPS1_S6_EviT3_lllT4_lllT5_li,"axG",@progbits,_ZL20rocblas_trmvt_kernelILi512ELb1ELb0ELb0EPKPK19rocblas_complex_numIfEPKPS1_S6_EviT3_lllT4_lllT5_li,comdat
	.globl	_ZL20rocblas_trmvt_kernelILi512ELb1ELb0ELb0EPKPK19rocblas_complex_numIfEPKPS1_S6_EviT3_lllT4_lllT5_li ; -- Begin function _ZL20rocblas_trmvt_kernelILi512ELb1ELb0ELb0EPKPK19rocblas_complex_numIfEPKPS1_S6_EviT3_lllT4_lllT5_li
	.p2align	8
	.type	_ZL20rocblas_trmvt_kernelILi512ELb1ELb0ELb0EPKPK19rocblas_complex_numIfEPKPS1_S6_EviT3_lllT4_lllT5_li,@function
_ZL20rocblas_trmvt_kernelILi512ELb1ELb0ELb0EPKPK19rocblas_complex_numIfEPKPS1_S6_EviT3_lllT4_lllT5_li: ; @_ZL20rocblas_trmvt_kernelILi512ELb1ELb0ELb0EPKPK19rocblas_complex_numIfEPKPS1_S6_EviT3_lllT4_lllT5_li
; %bb.0:
	s_load_b32 s28, s[0:1], 0x58
	s_bfe_u32 s2, ttmp6, 0x40014
	s_lshr_b32 s4, ttmp7, 16
	s_add_co_i32 s2, s2, 1
	s_bfe_u32 s5, ttmp6, 0x40008
	s_mul_i32 s2, s4, s2
	s_getreg_b32 s3, hwreg(HW_REG_IB_STS2, 6, 4)
	s_add_co_i32 s5, s5, s2
	s_cmp_eq_u32 s3, 0
	s_mov_b32 s17, 0
	s_cselect_b32 s16, s4, s5
	s_wait_kmcnt 0x0
	s_cmp_ge_u32 s16, s28
	s_cbranch_scc1 .LBB82_21
; %bb.1:
	s_clause 0x5
	s_load_b64 s[24:25], s[0:1], 0x38
	s_load_b32 s29, s[0:1], 0x0
	s_load_b128 s[8:11], s[0:1], 0x8
	s_load_b64 s[20:21], s[0:1], 0x18
	s_load_b128 s[12:15], s[0:1], 0x28
	s_load_b128 s[4:7], s[0:1], 0x48
	v_dual_mov_b32 v3, 0 :: v_dual_bitop2_b32 v2, 31, v0 bitop3:0x40
	v_mbcnt_lo_u32_b32 v8, -1, 0
	s_bfe_u32 s2, ttmp6, 0x4000c
	s_delay_alu instid0(VALU_DEP_2)
	v_dual_lshrrev_b32 v9, 2, v0 :: v_dual_mov_b32 v1, v3
	s_add_co_i32 s2, s2, 1
	s_and_b32 s18, ttmp6, 15
	s_mul_i32 s19, ttmp9, s2
	v_cmp_gt_u32_e64 s2, 24, v8
	s_add_co_i32 s18, s18, s19
	s_cmp_eq_u32 s3, 0
	v_mov_b64_e32 v[4:5], 0
	s_cselect_b32 s18, ttmp9, s18
	s_wait_kmcnt 0x0
	v_mul_u64_e32 v[6:7], s[24:25], v[0:1]
	v_cndmask_b32_e64 v10, 0, 8, s2
	v_cmp_gt_u32_e64 s2, 28, v8
	v_cmp_gt_i32_e64 s3, s29, v0
	s_lshl_b64 s[14:15], s[14:15], 3
	s_ashr_i32 s19, s18, 31
	v_cmp_gt_u32_e64 s0, 32, v0
	v_cndmask_b32_e64 v11, 0, 4, s2
	v_cmp_gt_u32_e64 s2, 30, v8
	v_cmp_gt_u32_e64 s1, 16, v0
	v_lshl_or_b32 v14, v8, 2, 64
	v_and_b32_e32 v15, 0x78, v9
	v_add_lshl_u32 v16, v10, v8, 2
	v_cndmask_b32_e64 v12, 0, 2, s2
	v_cmp_ne_u32_e64 s2, 31, v8
	v_add_lshl_u32 v17, v11, v8, 2
	s_lshl_b64 s[22:23], s[18:19], 3
	s_mul_u64 s[26:27], s[24:25], s[18:19]
	v_add_lshl_u32 v18, v12, v8, 2
	v_add_co_ci_u32_e64 v13, null, 0, v8, s2
	v_lshlrev_b32_e32 v1, 3, v2
	v_cmp_eq_u32_e64 s2, 0, v2
	s_delay_alu instid0(VALU_DEP_3) | instskip(SKIP_3) | instid1(VALU_DEP_1)
	v_dual_cndmask_b32 v2, 0, v0, s3 :: v_dual_lshlrev_b32 v19, 2, v13
	s_mul_u64 s[20:21], s[20:21], s[18:19]
	s_add_nc_u64 s[22:23], s[4:5], s[22:23]
	s_lshl_b64 s[24:25], s[24:25], 12
	v_lshlrev_b32_e32 v2, 3, v2
	s_lshl_b64 s[10:11], s[10:11], 3
	s_lshl_b64 s[26:27], s[26:27], 3
	v_cmp_eq_u32_e32 vcc_lo, 0, v0
	v_lshl_add_u64 v[6:7], v[6:7], 3, s[14:15]
	s_branch .LBB82_3
.LBB82_2:                               ;   in Loop: Header=BB82_3 Depth=1
	s_wait_xcnt 0x0
	s_or_b32 exec_lo, exec_lo, s4
	s_add_co_i32 s16, s16, 0x10000
	s_delay_alu instid0(SALU_CYCLE_1)
	s_cmp_lt_u32 s16, s28
	s_cbranch_scc0 .LBB82_21
.LBB82_3:                               ; =>This Loop Header: Depth=1
                                        ;     Child Loop BB82_15 Depth 2
	v_mov_b32_e32 v10, s16
	s_wait_dscnt 0x0
	s_clause 0x1
	global_load_b64 v[8:9], v10, s[8:9] scale_offset
	global_load_b64 v[12:13], v10, s[12:13] scale_offset
	s_wait_loadcnt 0x1
	v_add_nc_u64_e32 v[8:9], s[10:11], v[8:9]
	s_wait_xcnt 0x0
	s_delay_alu instid0(VALU_DEP_1) | instskip(SKIP_1) | instid1(VALU_DEP_2)
	v_add_nc_u64_e32 v[10:11], v[8:9], v[2:3]
	v_mov_b64_e32 v[8:9], 0
	v_lshl_add_u64 v[10:11], s[20:21], 3, v[10:11]
	s_and_saveexec_b32 s4, vcc_lo
	s_cbranch_execnz .LBB82_12
; %bb.4:                                ;   in Loop: Header=BB82_3 Depth=1
	s_or_b32 exec_lo, exec_lo, s4
	s_and_saveexec_b32 s5, s3
	s_cbranch_execnz .LBB82_13
.LBB82_5:                               ;   in Loop: Header=BB82_3 Depth=1
	s_or_b32 exec_lo, exec_lo, s5
	s_and_saveexec_b32 s4, s0
.LBB82_6:                               ;   in Loop: Header=BB82_3 Depth=1
	ds_store_b64 v1, v[4:5]
.LBB82_7:                               ;   in Loop: Header=BB82_3 Depth=1
	s_or_b32 exec_lo, exec_lo, s4
	ds_bpermute_b32 v10, v14, v8
	ds_bpermute_b32 v11, v14, v9
	s_wait_loadcnt_dscnt 0x0
	s_barrier_signal -1
	s_barrier_wait -1
	v_pk_add_f32 v[8:9], v[8:9], v[10:11]
	ds_bpermute_b32 v10, v16, v8
	ds_bpermute_b32 v11, v16, v9
	s_wait_dscnt 0x0
	v_pk_add_f32 v[8:9], v[8:9], v[10:11]
	ds_bpermute_b32 v10, v17, v8
	ds_bpermute_b32 v11, v17, v9
	s_wait_dscnt 0x0
	;; [unrolled: 4-line block ×3, first 2 shown]
	v_pk_add_f32 v[8:9], v[8:9], v[10:11]
	ds_bpermute_b32 v10, v19, v8
	ds_bpermute_b32 v11, v19, v9
	s_and_saveexec_b32 s4, s2
	s_cbranch_execz .LBB82_9
; %bb.8:                                ;   in Loop: Header=BB82_3 Depth=1
	s_wait_dscnt 0x0
	v_pk_add_f32 v[8:9], v[8:9], v[10:11]
	ds_store_b64 v15, v[8:9]
.LBB82_9:                               ;   in Loop: Header=BB82_3 Depth=1
	s_or_b32 exec_lo, exec_lo, s4
	v_mov_b64_e32 v[8:9], 0
	s_wait_dscnt 0x0
	s_barrier_signal -1
	s_barrier_wait -1
	s_and_saveexec_b32 s4, s1
	s_cbranch_execnz .LBB82_17
; %bb.10:                               ;   in Loop: Header=BB82_3 Depth=1
	s_or_b32 exec_lo, exec_lo, s4
	s_and_saveexec_b32 s4, s0
	s_cbranch_execnz .LBB82_18
.LBB82_11:                              ;   in Loop: Header=BB82_3 Depth=1
	s_or_b32 exec_lo, exec_lo, s4
	s_and_saveexec_b32 s4, vcc_lo
	s_cbranch_execz .LBB82_2
	s_branch .LBB82_19
.LBB82_12:                              ;   in Loop: Header=BB82_3 Depth=1
	s_wait_loadcnt 0x0
	v_add_nc_u64_e32 v[8:9], s[14:15], v[12:13]
	v_lshl_add_u64 v[20:21], s[18:19], 3, v[10:11]
	s_delay_alu instid0(VALU_DEP_2)
	v_add_nc_u64_e32 v[8:9], s[26:27], v[8:9]
	flat_load_b64 v[22:23], v[20:21]
	flat_load_b64 v[24:25], v[8:9]
	s_wait_loadcnt_dscnt 0x0
	s_wait_xcnt 0x0
	v_pk_mul_f32 v[8:9], v[24:25], v[22:23] op_sel:[1,1] op_sel_hi:[0,1]
	s_delay_alu instid0(VALU_DEP_1) | instskip(SKIP_1) | instid1(VALU_DEP_2)
	v_pk_fma_f32 v[20:21], v[24:25], v[22:23], v[8:9] op_sel_hi:[1,0,1]
	v_pk_fma_f32 v[8:9], v[24:25], v[22:23], v[8:9] neg_lo:[0,0,1] neg_hi:[0,0,1]
	v_mov_b32_e32 v9, v21
	s_delay_alu instid0(VALU_DEP_1)
	v_pk_add_f32 v[8:9], v[8:9], 0 op_sel_hi:[1,0]
	s_or_b32 exec_lo, exec_lo, s4
	s_and_saveexec_b32 s5, s3
	s_cbranch_execz .LBB82_5
.LBB82_13:                              ;   in Loop: Header=BB82_3 Depth=1
	s_wait_loadcnt 0x0
	v_add_nc_u64_e32 v[12:13], v[12:13], v[6:7]
	v_mov_b32_e32 v20, v0
	s_mov_b32 s30, 0
	s_branch .LBB82_15
.LBB82_14:                              ;   in Loop: Header=BB82_15 Depth=2
	s_wait_xcnt 0x0
	s_or_b32 exec_lo, exec_lo, s31
	v_add_nc_u32_e32 v20, 0x200, v20
	v_add_nc_u64_e32 v[10:11], 0x1000, v[10:11]
	v_add_nc_u64_e32 v[12:13], s[24:25], v[12:13]
	s_delay_alu instid0(VALU_DEP_3) | instskip(SKIP_1) | instid1(SALU_CYCLE_1)
	v_cmp_le_i32_e64 s4, s29, v20
	s_or_b32 s30, s4, s30
	s_and_not1_b32 exec_lo, exec_lo, s30
	s_cbranch_execz .LBB82_20
.LBB82_15:                              ;   Parent Loop BB82_3 Depth=1
                                        ; =>  This Inner Loop Header: Depth=2
	s_mov_b32 s31, exec_lo
	s_delay_alu instid0(VALU_DEP_1)
	v_cmpx_lt_i32_e64 s18, v20
	s_cbranch_execz .LBB82_14
; %bb.16:                               ;   in Loop: Header=BB82_15 Depth=2
	flat_load_b64 v[22:23], v[10:11]
	flat_load_b64 v[24:25], v[12:13]
	s_wait_loadcnt_dscnt 0x0
	v_pk_mul_f32 v[26:27], v[24:25], v[22:23] op_sel:[1,1] op_sel_hi:[0,1]
	s_delay_alu instid0(VALU_DEP_1) | instskip(SKIP_1) | instid1(VALU_DEP_2)
	v_pk_fma_f32 v[28:29], v[24:25], v[22:23], v[26:27] op_sel_hi:[1,0,1]
	v_pk_fma_f32 v[22:23], v[24:25], v[22:23], v[26:27] neg_lo:[0,0,1] neg_hi:[0,0,1]
	v_mov_b32_e32 v23, v29
	s_delay_alu instid0(VALU_DEP_1)
	v_pk_add_f32 v[8:9], v[8:9], v[22:23]
	s_branch .LBB82_14
.LBB82_17:                              ;   in Loop: Header=BB82_3 Depth=1
	ds_load_b64 v[8:9], v1
	s_or_b32 exec_lo, exec_lo, s4
	s_and_saveexec_b32 s4, s0
	s_cbranch_execz .LBB82_11
.LBB82_18:                              ;   in Loop: Header=BB82_3 Depth=1
	s_wait_dscnt 0x0
	ds_bpermute_b32 v10, v16, v8
	ds_bpermute_b32 v11, v16, v9
	s_wait_dscnt 0x0
	v_pk_add_f32 v[8:9], v[8:9], v[10:11]
	ds_bpermute_b32 v10, v17, v8
	ds_bpermute_b32 v11, v17, v9
	s_wait_dscnt 0x0
	v_pk_add_f32 v[8:9], v[8:9], v[10:11]
	;; [unrolled: 4-line block ×4, first 2 shown]
	s_or_b32 exec_lo, exec_lo, s4
	s_and_saveexec_b32 s4, vcc_lo
	s_cbranch_execz .LBB82_2
.LBB82_19:                              ;   in Loop: Header=BB82_3 Depth=1
	s_mul_u64 s[30:31], s[6:7], s[16:17]
	s_delay_alu instid0(SALU_CYCLE_1) | instskip(NEXT) | instid1(SALU_CYCLE_1)
	s_lshl_b64 s[30:31], s[30:31], 3
	s_add_nc_u64 s[30:31], s[22:23], s[30:31]
	s_wait_dscnt 0x0
	global_store_b64 v3, v[8:9], s[30:31]
	s_branch .LBB82_2
.LBB82_20:                              ;   in Loop: Header=BB82_3 Depth=1
	s_or_b32 exec_lo, exec_lo, s30
	s_delay_alu instid0(SALU_CYCLE_1)
	s_or_b32 exec_lo, exec_lo, s5
	s_and_saveexec_b32 s4, s0
	s_cbranch_execnz .LBB82_6
	s_branch .LBB82_7
.LBB82_21:
	s_endpgm
	.section	.rodata,"a",@progbits
	.p2align	6, 0x0
	.amdhsa_kernel _ZL20rocblas_trmvt_kernelILi512ELb1ELb0ELb0EPKPK19rocblas_complex_numIfEPKPS1_S6_EviT3_lllT4_lllT5_li
		.amdhsa_group_segment_fixed_size 256
		.amdhsa_private_segment_fixed_size 0
		.amdhsa_kernarg_size 92
		.amdhsa_user_sgpr_count 2
		.amdhsa_user_sgpr_dispatch_ptr 0
		.amdhsa_user_sgpr_queue_ptr 0
		.amdhsa_user_sgpr_kernarg_segment_ptr 1
		.amdhsa_user_sgpr_dispatch_id 0
		.amdhsa_user_sgpr_kernarg_preload_length 0
		.amdhsa_user_sgpr_kernarg_preload_offset 0
		.amdhsa_user_sgpr_private_segment_size 0
		.amdhsa_wavefront_size32 1
		.amdhsa_uses_dynamic_stack 0
		.amdhsa_enable_private_segment 0
		.amdhsa_system_sgpr_workgroup_id_x 1
		.amdhsa_system_sgpr_workgroup_id_y 0
		.amdhsa_system_sgpr_workgroup_id_z 1
		.amdhsa_system_sgpr_workgroup_info 0
		.amdhsa_system_vgpr_workitem_id 0
		.amdhsa_next_free_vgpr 30
		.amdhsa_next_free_sgpr 32
		.amdhsa_named_barrier_count 0
		.amdhsa_reserve_vcc 1
		.amdhsa_float_round_mode_32 0
		.amdhsa_float_round_mode_16_64 0
		.amdhsa_float_denorm_mode_32 3
		.amdhsa_float_denorm_mode_16_64 3
		.amdhsa_fp16_overflow 0
		.amdhsa_memory_ordered 1
		.amdhsa_forward_progress 1
		.amdhsa_inst_pref_size 10
		.amdhsa_round_robin_scheduling 0
		.amdhsa_exception_fp_ieee_invalid_op 0
		.amdhsa_exception_fp_denorm_src 0
		.amdhsa_exception_fp_ieee_div_zero 0
		.amdhsa_exception_fp_ieee_overflow 0
		.amdhsa_exception_fp_ieee_underflow 0
		.amdhsa_exception_fp_ieee_inexact 0
		.amdhsa_exception_int_div_zero 0
	.end_amdhsa_kernel
	.section	.text._ZL20rocblas_trmvt_kernelILi512ELb1ELb0ELb0EPKPK19rocblas_complex_numIfEPKPS1_S6_EviT3_lllT4_lllT5_li,"axG",@progbits,_ZL20rocblas_trmvt_kernelILi512ELb1ELb0ELb0EPKPK19rocblas_complex_numIfEPKPS1_S6_EviT3_lllT4_lllT5_li,comdat
.Lfunc_end82:
	.size	_ZL20rocblas_trmvt_kernelILi512ELb1ELb0ELb0EPKPK19rocblas_complex_numIfEPKPS1_S6_EviT3_lllT4_lllT5_li, .Lfunc_end82-_ZL20rocblas_trmvt_kernelILi512ELb1ELb0ELb0EPKPK19rocblas_complex_numIfEPKPS1_S6_EviT3_lllT4_lllT5_li
                                        ; -- End function
	.set _ZL20rocblas_trmvt_kernelILi512ELb1ELb0ELb0EPKPK19rocblas_complex_numIfEPKPS1_S6_EviT3_lllT4_lllT5_li.num_vgpr, 30
	.set _ZL20rocblas_trmvt_kernelILi512ELb1ELb0ELb0EPKPK19rocblas_complex_numIfEPKPS1_S6_EviT3_lllT4_lllT5_li.num_agpr, 0
	.set _ZL20rocblas_trmvt_kernelILi512ELb1ELb0ELb0EPKPK19rocblas_complex_numIfEPKPS1_S6_EviT3_lllT4_lllT5_li.numbered_sgpr, 32
	.set _ZL20rocblas_trmvt_kernelILi512ELb1ELb0ELb0EPKPK19rocblas_complex_numIfEPKPS1_S6_EviT3_lllT4_lllT5_li.num_named_barrier, 0
	.set _ZL20rocblas_trmvt_kernelILi512ELb1ELb0ELb0EPKPK19rocblas_complex_numIfEPKPS1_S6_EviT3_lllT4_lllT5_li.private_seg_size, 0
	.set _ZL20rocblas_trmvt_kernelILi512ELb1ELb0ELb0EPKPK19rocblas_complex_numIfEPKPS1_S6_EviT3_lllT4_lllT5_li.uses_vcc, 1
	.set _ZL20rocblas_trmvt_kernelILi512ELb1ELb0ELb0EPKPK19rocblas_complex_numIfEPKPS1_S6_EviT3_lllT4_lllT5_li.uses_flat_scratch, 0
	.set _ZL20rocblas_trmvt_kernelILi512ELb1ELb0ELb0EPKPK19rocblas_complex_numIfEPKPS1_S6_EviT3_lllT4_lllT5_li.has_dyn_sized_stack, 0
	.set _ZL20rocblas_trmvt_kernelILi512ELb1ELb0ELb0EPKPK19rocblas_complex_numIfEPKPS1_S6_EviT3_lllT4_lllT5_li.has_recursion, 0
	.set _ZL20rocblas_trmvt_kernelILi512ELb1ELb0ELb0EPKPK19rocblas_complex_numIfEPKPS1_S6_EviT3_lllT4_lllT5_li.has_indirect_call, 0
	.section	.AMDGPU.csdata,"",@progbits
; Kernel info:
; codeLenInByte = 1260
; TotalNumSgprs: 34
; NumVgprs: 30
; ScratchSize: 0
; MemoryBound: 0
; FloatMode: 240
; IeeeMode: 1
; LDSByteSize: 256 bytes/workgroup (compile time only)
; SGPRBlocks: 0
; VGPRBlocks: 1
; NumSGPRsForWavesPerEU: 34
; NumVGPRsForWavesPerEU: 30
; NamedBarCnt: 0
; Occupancy: 16
; WaveLimiterHint : 1
; COMPUTE_PGM_RSRC2:SCRATCH_EN: 0
; COMPUTE_PGM_RSRC2:USER_SGPR: 2
; COMPUTE_PGM_RSRC2:TRAP_HANDLER: 0
; COMPUTE_PGM_RSRC2:TGID_X_EN: 1
; COMPUTE_PGM_RSRC2:TGID_Y_EN: 0
; COMPUTE_PGM_RSRC2:TGID_Z_EN: 1
; COMPUTE_PGM_RSRC2:TIDIG_COMP_CNT: 0
	.section	.text._ZL20rocblas_trmvt_kernelILi512ELb1ELb1ELb0EPKPK19rocblas_complex_numIfEPKPS1_S6_EviT3_lllT4_lllT5_li,"axG",@progbits,_ZL20rocblas_trmvt_kernelILi512ELb1ELb1ELb0EPKPK19rocblas_complex_numIfEPKPS1_S6_EviT3_lllT4_lllT5_li,comdat
	.globl	_ZL20rocblas_trmvt_kernelILi512ELb1ELb1ELb0EPKPK19rocblas_complex_numIfEPKPS1_S6_EviT3_lllT4_lllT5_li ; -- Begin function _ZL20rocblas_trmvt_kernelILi512ELb1ELb1ELb0EPKPK19rocblas_complex_numIfEPKPS1_S6_EviT3_lllT4_lllT5_li
	.p2align	8
	.type	_ZL20rocblas_trmvt_kernelILi512ELb1ELb1ELb0EPKPK19rocblas_complex_numIfEPKPS1_S6_EviT3_lllT4_lllT5_li,@function
_ZL20rocblas_trmvt_kernelILi512ELb1ELb1ELb0EPKPK19rocblas_complex_numIfEPKPS1_S6_EviT3_lllT4_lllT5_li: ; @_ZL20rocblas_trmvt_kernelILi512ELb1ELb1ELb0EPKPK19rocblas_complex_numIfEPKPS1_S6_EviT3_lllT4_lllT5_li
; %bb.0:
	s_load_b32 s28, s[0:1], 0x58
	s_bfe_u32 s2, ttmp6, 0x40014
	s_lshr_b32 s3, ttmp7, 16
	s_add_co_i32 s2, s2, 1
	s_bfe_u32 s5, ttmp6, 0x40008
	s_mul_i32 s4, s3, s2
	s_getreg_b32 s2, hwreg(HW_REG_IB_STS2, 6, 4)
	s_add_co_i32 s5, s5, s4
	s_cmp_eq_u32 s2, 0
	s_mov_b32 s17, 0
	s_cselect_b32 s16, s3, s5
	s_wait_kmcnt 0x0
	s_cmp_ge_u32 s16, s28
	s_cbranch_scc1 .LBB83_21
; %bb.1:
	s_clause 0x5
	s_load_b32 s29, s[0:1], 0x0
	s_load_b64 s[20:21], s[0:1], 0x18
	s_load_b64 s[24:25], s[0:1], 0x38
	s_load_b128 s[8:11], s[0:1], 0x8
	s_load_b128 s[12:15], s[0:1], 0x28
	;; [unrolled: 1-line block ×3, first 2 shown]
	s_wait_xcnt 0x0
	s_bfe_u32 s0, ttmp6, 0x4000c
	s_and_b32 s1, ttmp6, 15
	s_add_co_i32 s0, s0, 1
	v_mbcnt_lo_u32_b32 v6, -1, 0
	s_mul_i32 s0, ttmp9, s0
	v_cmp_eq_u32_e32 vcc_lo, 0, v0
	s_add_co_i32 s1, s1, s0
	s_cmp_eq_u32 s2, 0
	v_cmp_gt_u32_e64 s2, 30, v6
	s_cselect_b32 s18, ttmp9, s1
	v_cmp_gt_u32_e64 s1, 24, v6
	s_ashr_i32 s19, s18, 31
	v_lshl_or_b32 v16, v6, 2, 64
	v_cndmask_b32_e64 v11, 0, 2, s2
	s_wait_kmcnt 0x0
	v_cmp_gt_i32_e64 s0, s29, v0
	v_mov_b32_e32 v3, 0
	v_cndmask_b32_e64 v2, 0, 8, s1
	v_cmp_gt_u32_e64 s1, 28, v6
	v_cmp_ne_u32_e64 s2, 31, v6
	s_delay_alu instid0(VALU_DEP_4)
	v_dual_cndmask_b32 v10, 0, v0, s0 :: v_dual_mov_b32 v1, v3
	v_and_b32_e32 v7, 31, v0
	s_mul_u64 s[20:21], s[20:21], s[18:19]
	v_cndmask_b32_e64 v4, 0, 4, s1
	v_add_lshl_u32 v17, v2, v6, 2
	v_mul_u64_e32 v[8:9], s[24:25], v[0:1]
	v_dual_lshlrev_b32 v1, 3, v7 :: v_dual_lshlrev_b32 v2, 3, v10
	s_lshl_b64 s[22:23], s[20:21], 3
	s_lshl_b64 s[10:11], s[10:11], 3
	v_add_co_ci_u32_e64 v12, null, 0, v6, s2
	s_add_nc_u64 s[2:3], s[22:23], s[10:11]
	v_add_lshl_u32 v18, v4, v6, 2
	v_add_nc_u64_e32 v[4:5], s[2:3], v[2:3]
	v_dual_lshrrev_b32 v13, 2, v0 :: v_dual_lshlrev_b32 v2, 3, v10
	v_add_lshl_u32 v19, v11, v6, 2
	v_cmp_eq_u32_e64 s2, 0, v7
	s_lshl_b64 s[14:15], s[14:15], 3
	v_mov_b64_e32 v[6:7], 0
	v_cmp_gt_u32_e64 s1, 32, v0
	v_lshlrev_b32_e32 v20, 2, v12
	v_and_b32_e32 v21, 0x78, v13
	v_cmp_gt_u32_e64 s3, 16, v0
	v_or_b32_e32 v4, 4, v4
	s_mul_u64 s[26:27], s[24:25], s[18:19]
	s_lshl_b64 s[22:23], s[18:19], 3
	s_lshl_b64 s[24:25], s[24:25], 12
	s_add_nc_u64 s[22:23], s[4:5], s[22:23]
	s_lshl_b64 s[26:27], s[26:27], 3
	v_lshl_add_u64 v[8:9], v[8:9], 3, s[14:15]
	s_branch .LBB83_3
.LBB83_2:                               ;   in Loop: Header=BB83_3 Depth=1
	s_wait_xcnt 0x0
	s_or_b32 exec_lo, exec_lo, s4
	s_add_co_i32 s16, s16, 0x10000
	s_delay_alu instid0(SALU_CYCLE_1)
	s_cmp_lt_u32 s16, s28
	s_cbranch_scc0 .LBB83_21
.LBB83_3:                               ; =>This Loop Header: Depth=1
                                        ;     Child Loop BB83_15 Depth 2
	s_wait_dscnt 0x0
	v_mov_b32_e32 v10, s16
	s_clause 0x1
	global_load_b64 v[12:13], v10, s[8:9] scale_offset
	global_load_b64 v[14:15], v10, s[12:13] scale_offset
	s_wait_xcnt 0x0
	v_mov_b64_e32 v[10:11], 0
	s_and_saveexec_b32 s4, vcc_lo
	s_cbranch_execnz .LBB83_12
; %bb.4:                                ;   in Loop: Header=BB83_3 Depth=1
	s_or_b32 exec_lo, exec_lo, s4
	s_and_saveexec_b32 s5, s0
	s_cbranch_execnz .LBB83_13
.LBB83_5:                               ;   in Loop: Header=BB83_3 Depth=1
	s_or_b32 exec_lo, exec_lo, s5
	s_and_saveexec_b32 s4, s1
.LBB83_6:                               ;   in Loop: Header=BB83_3 Depth=1
	ds_store_b64 v1, v[6:7]
.LBB83_7:                               ;   in Loop: Header=BB83_3 Depth=1
	s_or_b32 exec_lo, exec_lo, s4
	s_wait_loadcnt 0x1
	ds_bpermute_b32 v12, v16, v10
	ds_bpermute_b32 v13, v16, v11
	s_wait_loadcnt_dscnt 0x0
	s_barrier_signal -1
	s_barrier_wait -1
	v_pk_add_f32 v[10:11], v[10:11], v[12:13]
	ds_bpermute_b32 v12, v17, v10
	ds_bpermute_b32 v13, v17, v11
	s_wait_dscnt 0x0
	v_pk_add_f32 v[10:11], v[10:11], v[12:13]
	ds_bpermute_b32 v12, v18, v10
	ds_bpermute_b32 v13, v18, v11
	s_wait_dscnt 0x0
	;; [unrolled: 4-line block ×3, first 2 shown]
	v_pk_add_f32 v[10:11], v[10:11], v[12:13]
	ds_bpermute_b32 v12, v20, v10
	ds_bpermute_b32 v13, v20, v11
	s_and_saveexec_b32 s4, s2
	s_cbranch_execz .LBB83_9
; %bb.8:                                ;   in Loop: Header=BB83_3 Depth=1
	s_wait_dscnt 0x0
	v_pk_add_f32 v[10:11], v[10:11], v[12:13]
	ds_store_b64 v21, v[10:11]
.LBB83_9:                               ;   in Loop: Header=BB83_3 Depth=1
	s_or_b32 exec_lo, exec_lo, s4
	v_mov_b64_e32 v[10:11], 0
	s_wait_dscnt 0x0
	s_barrier_signal -1
	s_barrier_wait -1
	s_and_saveexec_b32 s4, s3
	s_cbranch_execnz .LBB83_17
; %bb.10:                               ;   in Loop: Header=BB83_3 Depth=1
	s_or_b32 exec_lo, exec_lo, s4
	s_and_saveexec_b32 s4, s1
	s_cbranch_execnz .LBB83_18
.LBB83_11:                              ;   in Loop: Header=BB83_3 Depth=1
	s_or_b32 exec_lo, exec_lo, s4
	s_and_saveexec_b32 s4, vcc_lo
	s_cbranch_execz .LBB83_2
	s_branch .LBB83_19
.LBB83_12:                              ;   in Loop: Header=BB83_3 Depth=1
	s_wait_loadcnt 0x1
	v_add_nc_u64_e32 v[10:11], s[10:11], v[12:13]
	s_wait_loadcnt 0x0
	v_add_nc_u64_e32 v[22:23], s[14:15], v[14:15]
	s_delay_alu instid0(VALU_DEP_2) | instskip(NEXT) | instid1(VALU_DEP_2)
	v_add_nc_u64_e32 v[10:11], v[10:11], v[2:3]
	v_add_nc_u64_e32 v[22:23], s[26:27], v[22:23]
	s_delay_alu instid0(VALU_DEP_2) | instskip(NEXT) | instid1(VALU_DEP_1)
	v_lshl_add_u64 v[10:11], s[20:21], 3, v[10:11]
	v_lshl_add_u64 v[10:11], s[18:19], 3, v[10:11]
	flat_load_b64 v[24:25], v[10:11]
	flat_load_b64 v[26:27], v[22:23]
	s_wait_loadcnt_dscnt 0x0
	s_wait_xcnt 0x1
	v_pk_mul_f32 v[10:11], v[24:25], v[26:27] op_sel:[1,1] op_sel_hi:[1,0]
	s_wait_xcnt 0x0
	s_delay_alu instid0(VALU_DEP_1) | instskip(SKIP_1) | instid1(VALU_DEP_2)
	v_pk_fma_f32 v[22:23], v[24:25], v[26:27], v[10:11] op_sel_hi:[0,1,1] neg_lo:[0,0,1] neg_hi:[0,0,1]
	v_pk_fma_f32 v[10:11], v[24:25], v[26:27], v[10:11]
	v_mov_b32_e32 v11, v23
	s_delay_alu instid0(VALU_DEP_1)
	v_pk_add_f32 v[10:11], v[10:11], 0 op_sel_hi:[1,0]
	s_or_b32 exec_lo, exec_lo, s4
	s_and_saveexec_b32 s5, s0
	s_cbranch_execz .LBB83_5
.LBB83_13:                              ;   in Loop: Header=BB83_3 Depth=1
	s_wait_loadcnt 0x1
	v_add_nc_u64_e32 v[12:13], v[12:13], v[4:5]
	s_wait_loadcnt 0x0
	v_add_nc_u64_e32 v[14:15], v[14:15], v[8:9]
	v_mov_b32_e32 v22, v0
	s_mov_b32 s30, 0
	s_branch .LBB83_15
.LBB83_14:                              ;   in Loop: Header=BB83_15 Depth=2
	s_wait_xcnt 0x0
	s_or_b32 exec_lo, exec_lo, s31
	v_add_nc_u32_e32 v22, 0x200, v22
	v_add_nc_u64_e32 v[12:13], 0x1000, v[12:13]
	v_add_nc_u64_e32 v[14:15], s[24:25], v[14:15]
	s_delay_alu instid0(VALU_DEP_3) | instskip(SKIP_1) | instid1(SALU_CYCLE_1)
	v_cmp_le_i32_e64 s4, s29, v22
	s_or_b32 s30, s4, s30
	s_and_not1_b32 exec_lo, exec_lo, s30
	s_cbranch_execz .LBB83_20
.LBB83_15:                              ;   Parent Loop BB83_3 Depth=1
                                        ; =>  This Inner Loop Header: Depth=2
	s_mov_b32 s31, exec_lo
	s_delay_alu instid0(VALU_DEP_1)
	v_cmpx_lt_i32_e64 s18, v22
	s_cbranch_execz .LBB83_14
; %bb.16:                               ;   in Loop: Header=BB83_15 Depth=2
	flat_load_b64 v[24:25], v[12:13] offset:-4
	flat_load_b64 v[26:27], v[14:15]
	s_wait_loadcnt_dscnt 0x0
	v_pk_mul_f32 v[28:29], v[24:25], v[26:27] op_sel:[1,1] op_sel_hi:[1,0]
	s_delay_alu instid0(VALU_DEP_1) | instskip(SKIP_1) | instid1(VALU_DEP_2)
	v_pk_fma_f32 v[30:31], v[24:25], v[26:27], v[28:29] op_sel_hi:[0,1,1] neg_lo:[0,0,1] neg_hi:[0,0,1]
	v_pk_fma_f32 v[24:25], v[24:25], v[26:27], v[28:29]
	v_mov_b32_e32 v25, v31
	s_delay_alu instid0(VALU_DEP_1)
	v_pk_add_f32 v[10:11], v[10:11], v[24:25]
	s_branch .LBB83_14
.LBB83_17:                              ;   in Loop: Header=BB83_3 Depth=1
	ds_load_b64 v[10:11], v1
	s_or_b32 exec_lo, exec_lo, s4
	s_and_saveexec_b32 s4, s1
	s_cbranch_execz .LBB83_11
.LBB83_18:                              ;   in Loop: Header=BB83_3 Depth=1
	s_wait_dscnt 0x0
	ds_bpermute_b32 v12, v17, v10
	ds_bpermute_b32 v13, v17, v11
	s_wait_dscnt 0x0
	v_pk_add_f32 v[10:11], v[10:11], v[12:13]
	ds_bpermute_b32 v12, v18, v10
	ds_bpermute_b32 v13, v18, v11
	s_wait_dscnt 0x0
	v_pk_add_f32 v[10:11], v[10:11], v[12:13]
	;; [unrolled: 4-line block ×4, first 2 shown]
	s_or_b32 exec_lo, exec_lo, s4
	s_and_saveexec_b32 s4, vcc_lo
	s_cbranch_execz .LBB83_2
.LBB83_19:                              ;   in Loop: Header=BB83_3 Depth=1
	s_mul_u64 s[30:31], s[6:7], s[16:17]
	s_delay_alu instid0(SALU_CYCLE_1) | instskip(NEXT) | instid1(SALU_CYCLE_1)
	s_lshl_b64 s[30:31], s[30:31], 3
	s_add_nc_u64 s[30:31], s[22:23], s[30:31]
	s_wait_dscnt 0x0
	global_store_b64 v3, v[10:11], s[30:31]
	s_branch .LBB83_2
.LBB83_20:                              ;   in Loop: Header=BB83_3 Depth=1
	s_or_b32 exec_lo, exec_lo, s30
	s_delay_alu instid0(SALU_CYCLE_1)
	s_or_b32 exec_lo, exec_lo, s5
	s_and_saveexec_b32 s4, s1
	s_cbranch_execnz .LBB83_6
	s_branch .LBB83_7
.LBB83_21:
	s_endpgm
	.section	.rodata,"a",@progbits
	.p2align	6, 0x0
	.amdhsa_kernel _ZL20rocblas_trmvt_kernelILi512ELb1ELb1ELb0EPKPK19rocblas_complex_numIfEPKPS1_S6_EviT3_lllT4_lllT5_li
		.amdhsa_group_segment_fixed_size 256
		.amdhsa_private_segment_fixed_size 0
		.amdhsa_kernarg_size 92
		.amdhsa_user_sgpr_count 2
		.amdhsa_user_sgpr_dispatch_ptr 0
		.amdhsa_user_sgpr_queue_ptr 0
		.amdhsa_user_sgpr_kernarg_segment_ptr 1
		.amdhsa_user_sgpr_dispatch_id 0
		.amdhsa_user_sgpr_kernarg_preload_length 0
		.amdhsa_user_sgpr_kernarg_preload_offset 0
		.amdhsa_user_sgpr_private_segment_size 0
		.amdhsa_wavefront_size32 1
		.amdhsa_uses_dynamic_stack 0
		.amdhsa_enable_private_segment 0
		.amdhsa_system_sgpr_workgroup_id_x 1
		.amdhsa_system_sgpr_workgroup_id_y 0
		.amdhsa_system_sgpr_workgroup_id_z 1
		.amdhsa_system_sgpr_workgroup_info 0
		.amdhsa_system_vgpr_workitem_id 0
		.amdhsa_next_free_vgpr 32
		.amdhsa_next_free_sgpr 32
		.amdhsa_named_barrier_count 0
		.amdhsa_reserve_vcc 1
		.amdhsa_float_round_mode_32 0
		.amdhsa_float_round_mode_16_64 0
		.amdhsa_float_denorm_mode_32 3
		.amdhsa_float_denorm_mode_16_64 3
		.amdhsa_fp16_overflow 0
		.amdhsa_memory_ordered 1
		.amdhsa_forward_progress 1
		.amdhsa_inst_pref_size 11
		.amdhsa_round_robin_scheduling 0
		.amdhsa_exception_fp_ieee_invalid_op 0
		.amdhsa_exception_fp_denorm_src 0
		.amdhsa_exception_fp_ieee_div_zero 0
		.amdhsa_exception_fp_ieee_overflow 0
		.amdhsa_exception_fp_ieee_underflow 0
		.amdhsa_exception_fp_ieee_inexact 0
		.amdhsa_exception_int_div_zero 0
	.end_amdhsa_kernel
	.section	.text._ZL20rocblas_trmvt_kernelILi512ELb1ELb1ELb0EPKPK19rocblas_complex_numIfEPKPS1_S6_EviT3_lllT4_lllT5_li,"axG",@progbits,_ZL20rocblas_trmvt_kernelILi512ELb1ELb1ELb0EPKPK19rocblas_complex_numIfEPKPS1_S6_EviT3_lllT4_lllT5_li,comdat
.Lfunc_end83:
	.size	_ZL20rocblas_trmvt_kernelILi512ELb1ELb1ELb0EPKPK19rocblas_complex_numIfEPKPS1_S6_EviT3_lllT4_lllT5_li, .Lfunc_end83-_ZL20rocblas_trmvt_kernelILi512ELb1ELb1ELb0EPKPK19rocblas_complex_numIfEPKPS1_S6_EviT3_lllT4_lllT5_li
                                        ; -- End function
	.set _ZL20rocblas_trmvt_kernelILi512ELb1ELb1ELb0EPKPK19rocblas_complex_numIfEPKPS1_S6_EviT3_lllT4_lllT5_li.num_vgpr, 32
	.set _ZL20rocblas_trmvt_kernelILi512ELb1ELb1ELb0EPKPK19rocblas_complex_numIfEPKPS1_S6_EviT3_lllT4_lllT5_li.num_agpr, 0
	.set _ZL20rocblas_trmvt_kernelILi512ELb1ELb1ELb0EPKPK19rocblas_complex_numIfEPKPS1_S6_EviT3_lllT4_lllT5_li.numbered_sgpr, 32
	.set _ZL20rocblas_trmvt_kernelILi512ELb1ELb1ELb0EPKPK19rocblas_complex_numIfEPKPS1_S6_EviT3_lllT4_lllT5_li.num_named_barrier, 0
	.set _ZL20rocblas_trmvt_kernelILi512ELb1ELb1ELb0EPKPK19rocblas_complex_numIfEPKPS1_S6_EviT3_lllT4_lllT5_li.private_seg_size, 0
	.set _ZL20rocblas_trmvt_kernelILi512ELb1ELb1ELb0EPKPK19rocblas_complex_numIfEPKPS1_S6_EviT3_lllT4_lllT5_li.uses_vcc, 1
	.set _ZL20rocblas_trmvt_kernelILi512ELb1ELb1ELb0EPKPK19rocblas_complex_numIfEPKPS1_S6_EviT3_lllT4_lllT5_li.uses_flat_scratch, 0
	.set _ZL20rocblas_trmvt_kernelILi512ELb1ELb1ELb0EPKPK19rocblas_complex_numIfEPKPS1_S6_EviT3_lllT4_lllT5_li.has_dyn_sized_stack, 0
	.set _ZL20rocblas_trmvt_kernelILi512ELb1ELb1ELb0EPKPK19rocblas_complex_numIfEPKPS1_S6_EviT3_lllT4_lllT5_li.has_recursion, 0
	.set _ZL20rocblas_trmvt_kernelILi512ELb1ELb1ELb0EPKPK19rocblas_complex_numIfEPKPS1_S6_EviT3_lllT4_lllT5_li.has_indirect_call, 0
	.section	.AMDGPU.csdata,"",@progbits
; Kernel info:
; codeLenInByte = 1296
; TotalNumSgprs: 34
; NumVgprs: 32
; ScratchSize: 0
; MemoryBound: 0
; FloatMode: 240
; IeeeMode: 1
; LDSByteSize: 256 bytes/workgroup (compile time only)
; SGPRBlocks: 0
; VGPRBlocks: 1
; NumSGPRsForWavesPerEU: 34
; NumVGPRsForWavesPerEU: 32
; NamedBarCnt: 0
; Occupancy: 16
; WaveLimiterHint : 1
; COMPUTE_PGM_RSRC2:SCRATCH_EN: 0
; COMPUTE_PGM_RSRC2:USER_SGPR: 2
; COMPUTE_PGM_RSRC2:TRAP_HANDLER: 0
; COMPUTE_PGM_RSRC2:TGID_X_EN: 1
; COMPUTE_PGM_RSRC2:TGID_Y_EN: 0
; COMPUTE_PGM_RSRC2:TGID_Z_EN: 1
; COMPUTE_PGM_RSRC2:TIDIG_COMP_CNT: 0
	.section	.text._ZL20rocblas_trmvn_kernelILi64ELi16ELb0ELb1EPKPK19rocblas_complex_numIdEPKPS1_S6_EviT3_lllT4_lllT5_li,"axG",@progbits,_ZL20rocblas_trmvn_kernelILi64ELi16ELb0ELb1EPKPK19rocblas_complex_numIdEPKPS1_S6_EviT3_lllT4_lllT5_li,comdat
	.globl	_ZL20rocblas_trmvn_kernelILi64ELi16ELb0ELb1EPKPK19rocblas_complex_numIdEPKPS1_S6_EviT3_lllT4_lllT5_li ; -- Begin function _ZL20rocblas_trmvn_kernelILi64ELi16ELb0ELb1EPKPK19rocblas_complex_numIdEPKPS1_S6_EviT3_lllT4_lllT5_li
	.p2align	8
	.type	_ZL20rocblas_trmvn_kernelILi64ELi16ELb0ELb1EPKPK19rocblas_complex_numIdEPKPS1_S6_EviT3_lllT4_lllT5_li,@function
_ZL20rocblas_trmvn_kernelILi64ELi16ELb0ELb1EPKPK19rocblas_complex_numIdEPKPS1_S6_EviT3_lllT4_lllT5_li: ; @_ZL20rocblas_trmvn_kernelILi64ELi16ELb0ELb1EPKPK19rocblas_complex_numIdEPKPS1_S6_EviT3_lllT4_lllT5_li
; %bb.0:
	s_load_b32 s3, s[0:1], 0x58
	s_bfe_u32 s2, ttmp6, 0x40014
	s_lshr_b32 s4, ttmp7, 16
	s_add_co_i32 s2, s2, 1
	s_bfe_u32 s6, ttmp6, 0x40008
	s_mul_i32 s5, s4, s2
	s_getreg_b32 s2, hwreg(HW_REG_IB_STS2, 6, 4)
	s_add_co_i32 s6, s6, s5
	s_cmp_eq_u32 s2, 0
	s_mov_b32 s17, 0
	s_cselect_b32 s16, s4, s6
	s_wait_kmcnt 0x0
	s_cmp_ge_u32 s16, s3
	s_cbranch_scc1 .LBB84_14
; %bb.1:
	s_clause 0x3
	s_load_b64 s[20:21], s[0:1], 0x18
	s_load_b32 s8, s[0:1], 0x6c
	s_load_b64 s[22:23], s[0:1], 0x38
	s_load_b128 s[4:7], s[0:1], 0x28
	s_bfe_u32 s9, ttmp6, 0x4000c
	s_and_b32 s10, ttmp6, 15
	s_add_co_i32 s9, s9, 1
	v_and_b32_e32 v10, 0x3ff, v0
	s_mul_i32 s9, ttmp9, s9
	v_bfe_u32 v4, v0, 10, 10
	s_add_co_i32 s12, s10, s9
	s_delay_alu instid0(VALU_DEP_2)
	v_lshlrev_b32_e32 v16, 4, v10
	s_wait_kmcnt 0x0
	s_and_b32 s19, s8, 0xffff
	s_cmp_eq_u32 s2, 0
	s_load_b128 s[8:11], s[0:1], 0x48
	s_cselect_b32 s2, ttmp9, s12
	s_clause 0x1
	s_load_b128 s[12:15], s[0:1], 0x8
	s_load_b32 s18, s[0:1], 0x0
	v_lshl_add_u32 v6, s2, 6, v10
	v_mov_b32_e32 v5, 0
	s_lshl_b64 s[6:7], s[6:7], 4
	v_mul_u32_u24_e32 v17, s19, v4
	v_cmp_eq_u32_e64 s2, 0, v4
	v_ashrrev_i32_e32 v7, 31, v6
	v_mul_u64_e32 v[0:1], s[20:21], v[4:5]
	v_mul_u64_e32 v[2:3], s[22:23], v[4:5]
	v_mad_u32_u24 v5, v4, s19, v10
	s_delay_alu instid0(VALU_DEP_4) | instskip(SKIP_2) | instid1(VALU_DEP_1)
	v_mul_u64_e32 v[8:9], s[22:23], v[6:7]
	v_lshlrev_b64_e32 v[14:15], 4, v[6:7]
	v_lshlrev_b32_e32 v7, 10, v4
	v_add_nc_u32_e32 v7, v16, v7
	s_wait_kmcnt 0x0
	s_lshl_b64 s[0:1], s[14:15], 4
	s_lshl_b64 s[14:15], s[20:21], 8
	v_cmp_gt_i32_e32 vcc_lo, s18, v4
	v_lshl_add_u64 v[0:1], v[0:1], 4, s[0:1]
	v_lshl_add_u64 v[12:13], v[2:3], 4, s[6:7]
	v_cmp_gt_i32_e64 s1, s18, v6
	v_cmp_gt_u32_e64 s0, 64, v5
	v_lshl_add_u32 v5, v17, 4, v16
	v_add_nc_u64_e32 v[10:11], v[0:1], v[14:15]
	v_add_nc_u64_e32 v[14:15], s[8:9], v[14:15]
	v_or_b32_e32 v12, 8, v12
	s_and_b32 s19, s2, s1
	s_lshl_b64 s[8:9], s[22:23], 8
	s_delay_alu instid0(VALU_DEP_3)
	v_or_b32_e32 v10, 8, v10
	s_branch .LBB84_3
.LBB84_2:                               ;   in Loop: Header=BB84_3 Depth=1
	s_wait_xcnt 0x0
	s_or_b32 exec_lo, exec_lo, s2
	s_add_co_i32 s16, s16, 0x10000
	s_delay_alu instid0(SALU_CYCLE_1)
	s_cmp_lt_u32 s16, s3
	s_cbranch_scc0 .LBB84_14
.LBB84_3:                               ; =>This Loop Header: Depth=1
                                        ;     Child Loop BB84_8 Depth 2
	v_mov_b32_e32 v0, s16
	v_mov_b64_e32 v[2:3], 0
	s_clause 0x1
	global_load_b64 v[18:19], v0, s[12:13] scale_offset
	global_load_b64 v[16:17], v0, s[4:5] scale_offset
	s_wait_xcnt 0x0
	v_mov_b64_e32 v[0:1], 0
	s_and_saveexec_b32 s2, s19
	s_cbranch_execz .LBB84_5
; %bb.4:                                ;   in Loop: Header=BB84_3 Depth=1
	s_wait_loadcnt 0x0
	v_add_nc_u64_e32 v[0:1], s[6:7], v[16:17]
	s_delay_alu instid0(VALU_DEP_1)
	v_lshl_add_u64 v[0:1], v[8:9], 4, v[0:1]
	flat_load_b128 v[0:3], v[0:1]
.LBB84_5:                               ;   in Loop: Header=BB84_3 Depth=1
	s_wait_xcnt 0x0
	s_or_b32 exec_lo, exec_lo, s2
	s_and_saveexec_b32 s20, vcc_lo
	s_cbranch_execz .LBB84_11
; %bb.6:                                ;   in Loop: Header=BB84_3 Depth=1
	s_wait_loadcnt 0x0
	v_add_nc_u64_e32 v[16:17], v[16:17], v[12:13]
	v_add_nc_u64_e32 v[18:19], v[18:19], v[10:11]
	v_mov_b32_e32 v20, v4
	s_mov_b32 s21, 0
	s_branch .LBB84_8
.LBB84_7:                               ;   in Loop: Header=BB84_8 Depth=2
	s_wait_xcnt 0x0
	s_or_b32 exec_lo, exec_lo, s22
	v_add_nc_u32_e32 v20, 16, v20
	v_add_nc_u64_e32 v[16:17], s[8:9], v[16:17]
	v_add_nc_u64_e32 v[18:19], s[14:15], v[18:19]
	s_delay_alu instid0(VALU_DEP_3) | instskip(SKIP_1) | instid1(SALU_CYCLE_1)
	v_cmp_le_i32_e64 s2, s18, v20
	s_or_b32 s21, s2, s21
	s_and_not1_b32 exec_lo, exec_lo, s21
	s_cbranch_execz .LBB84_10
.LBB84_8:                               ;   Parent Loop BB84_3 Depth=1
                                        ; =>  This Inner Loop Header: Depth=2
	s_mov_b32 s22, exec_lo
	s_delay_alu instid0(VALU_DEP_1)
	v_cmpx_gt_i32_e64 v20, v6
	s_cbranch_execz .LBB84_7
; %bb.9:                                ;   in Loop: Header=BB84_8 Depth=2
	flat_load_b128 v[22:25], v[16:17] offset:-8
	flat_load_b128 v[26:29], v[18:19] offset:-8
	s_wait_loadcnt_dscnt 0x0
	v_mul_f64_e32 v[30:31], v[24:25], v[28:29]
	v_mul_f64_e32 v[28:29], v[22:23], v[28:29]
	s_delay_alu instid0(VALU_DEP_2) | instskip(NEXT) | instid1(VALU_DEP_2)
	v_fma_f64 v[22:23], v[22:23], v[26:27], -v[30:31]
	v_fmac_f64_e32 v[28:29], v[24:25], v[26:27]
	s_delay_alu instid0(VALU_DEP_2) | instskip(NEXT) | instid1(VALU_DEP_2)
	v_add_f64_e32 v[0:1], v[0:1], v[22:23]
	v_add_f64_e32 v[2:3], v[2:3], v[28:29]
	s_branch .LBB84_7
.LBB84_10:                              ;   in Loop: Header=BB84_3 Depth=1
	s_or_b32 exec_lo, exec_lo, s21
.LBB84_11:                              ;   in Loop: Header=BB84_3 Depth=1
	s_delay_alu instid0(SALU_CYCLE_1)
	s_or_b32 exec_lo, exec_lo, s20
	s_wait_loadcnt_dscnt 0x0
	ds_store_b128 v7, v[0:3]
	s_wait_dscnt 0x0
	s_barrier_signal -1
	s_barrier_wait -1
	s_and_saveexec_b32 s2, s0
	s_cbranch_execz .LBB84_2
; %bb.12:                               ;   in Loop: Header=BB84_3 Depth=1
	ds_load_b128 v[0:3], v5
	ds_load_b128 v[16:19], v5 offset:1024
	s_wait_dscnt 0x0
	v_add_f64_e32 v[20:21], v[0:1], v[16:17]
	v_add_f64_e32 v[22:23], v[2:3], v[18:19]
	ds_load_b128 v[0:3], v5 offset:2048
	ds_load_b128 v[16:19], v5 offset:3072
	s_wait_dscnt 0x1
	v_add_f64_e32 v[0:1], v[20:21], v[0:1]
	v_add_f64_e32 v[2:3], v[22:23], v[2:3]
	s_wait_dscnt 0x0
	s_delay_alu instid0(VALU_DEP_2) | instskip(NEXT) | instid1(VALU_DEP_2)
	v_add_f64_e32 v[20:21], v[0:1], v[16:17]
	v_add_f64_e32 v[22:23], v[2:3], v[18:19]
	ds_load_b128 v[0:3], v5 offset:4096
	ds_load_b128 v[16:19], v5 offset:5120
	s_wait_dscnt 0x1
	v_add_f64_e32 v[0:1], v[20:21], v[0:1]
	v_add_f64_e32 v[2:3], v[22:23], v[2:3]
	s_wait_dscnt 0x0
	s_delay_alu instid0(VALU_DEP_2) | instskip(NEXT) | instid1(VALU_DEP_2)
	;; [unrolled: 9-line block ×7, first 2 shown]
	v_add_f64_e32 v[0:1], v[0:1], v[16:17]
	v_add_f64_e32 v[2:3], v[2:3], v[18:19]
	ds_store_b128 v5, v[0:3]
	s_and_b32 exec_lo, exec_lo, s1
	s_cbranch_execz .LBB84_2
; %bb.13:                               ;   in Loop: Header=BB84_3 Depth=1
	ds_load_2addr_b64 v[0:3], v5 offset1:1
	s_mul_u64 s[20:21], s[10:11], s[16:17]
	s_delay_alu instid0(SALU_CYCLE_1)
	v_lshl_add_u64 v[16:17], s[20:21], 4, v[14:15]
	s_wait_dscnt 0x0
	global_store_b128 v[16:17], v[0:3], off
	s_branch .LBB84_2
.LBB84_14:
	s_endpgm
	.section	.rodata,"a",@progbits
	.p2align	6, 0x0
	.amdhsa_kernel _ZL20rocblas_trmvn_kernelILi64ELi16ELb0ELb1EPKPK19rocblas_complex_numIdEPKPS1_S6_EviT3_lllT4_lllT5_li
		.amdhsa_group_segment_fixed_size 16384
		.amdhsa_private_segment_fixed_size 0
		.amdhsa_kernarg_size 352
		.amdhsa_user_sgpr_count 2
		.amdhsa_user_sgpr_dispatch_ptr 0
		.amdhsa_user_sgpr_queue_ptr 0
		.amdhsa_user_sgpr_kernarg_segment_ptr 1
		.amdhsa_user_sgpr_dispatch_id 0
		.amdhsa_user_sgpr_kernarg_preload_length 0
		.amdhsa_user_sgpr_kernarg_preload_offset 0
		.amdhsa_user_sgpr_private_segment_size 0
		.amdhsa_wavefront_size32 1
		.amdhsa_uses_dynamic_stack 0
		.amdhsa_enable_private_segment 0
		.amdhsa_system_sgpr_workgroup_id_x 1
		.amdhsa_system_sgpr_workgroup_id_y 0
		.amdhsa_system_sgpr_workgroup_id_z 1
		.amdhsa_system_sgpr_workgroup_info 0
		.amdhsa_system_vgpr_workitem_id 1
		.amdhsa_next_free_vgpr 32
		.amdhsa_next_free_sgpr 24
		.amdhsa_named_barrier_count 0
		.amdhsa_reserve_vcc 1
		.amdhsa_float_round_mode_32 0
		.amdhsa_float_round_mode_16_64 0
		.amdhsa_float_denorm_mode_32 3
		.amdhsa_float_denorm_mode_16_64 3
		.amdhsa_fp16_overflow 0
		.amdhsa_memory_ordered 1
		.amdhsa_forward_progress 1
		.amdhsa_inst_pref_size 9
		.amdhsa_round_robin_scheduling 0
		.amdhsa_exception_fp_ieee_invalid_op 0
		.amdhsa_exception_fp_denorm_src 0
		.amdhsa_exception_fp_ieee_div_zero 0
		.amdhsa_exception_fp_ieee_overflow 0
		.amdhsa_exception_fp_ieee_underflow 0
		.amdhsa_exception_fp_ieee_inexact 0
		.amdhsa_exception_int_div_zero 0
	.end_amdhsa_kernel
	.section	.text._ZL20rocblas_trmvn_kernelILi64ELi16ELb0ELb1EPKPK19rocblas_complex_numIdEPKPS1_S6_EviT3_lllT4_lllT5_li,"axG",@progbits,_ZL20rocblas_trmvn_kernelILi64ELi16ELb0ELb1EPKPK19rocblas_complex_numIdEPKPS1_S6_EviT3_lllT4_lllT5_li,comdat
.Lfunc_end84:
	.size	_ZL20rocblas_trmvn_kernelILi64ELi16ELb0ELb1EPKPK19rocblas_complex_numIdEPKPS1_S6_EviT3_lllT4_lllT5_li, .Lfunc_end84-_ZL20rocblas_trmvn_kernelILi64ELi16ELb0ELb1EPKPK19rocblas_complex_numIdEPKPS1_S6_EviT3_lllT4_lllT5_li
                                        ; -- End function
	.set _ZL20rocblas_trmvn_kernelILi64ELi16ELb0ELb1EPKPK19rocblas_complex_numIdEPKPS1_S6_EviT3_lllT4_lllT5_li.num_vgpr, 32
	.set _ZL20rocblas_trmvn_kernelILi64ELi16ELb0ELb1EPKPK19rocblas_complex_numIdEPKPS1_S6_EviT3_lllT4_lllT5_li.num_agpr, 0
	.set _ZL20rocblas_trmvn_kernelILi64ELi16ELb0ELb1EPKPK19rocblas_complex_numIdEPKPS1_S6_EviT3_lllT4_lllT5_li.numbered_sgpr, 24
	.set _ZL20rocblas_trmvn_kernelILi64ELi16ELb0ELb1EPKPK19rocblas_complex_numIdEPKPS1_S6_EviT3_lllT4_lllT5_li.num_named_barrier, 0
	.set _ZL20rocblas_trmvn_kernelILi64ELi16ELb0ELb1EPKPK19rocblas_complex_numIdEPKPS1_S6_EviT3_lllT4_lllT5_li.private_seg_size, 0
	.set _ZL20rocblas_trmvn_kernelILi64ELi16ELb0ELb1EPKPK19rocblas_complex_numIdEPKPS1_S6_EviT3_lllT4_lllT5_li.uses_vcc, 1
	.set _ZL20rocblas_trmvn_kernelILi64ELi16ELb0ELb1EPKPK19rocblas_complex_numIdEPKPS1_S6_EviT3_lllT4_lllT5_li.uses_flat_scratch, 0
	.set _ZL20rocblas_trmvn_kernelILi64ELi16ELb0ELb1EPKPK19rocblas_complex_numIdEPKPS1_S6_EviT3_lllT4_lllT5_li.has_dyn_sized_stack, 0
	.set _ZL20rocblas_trmvn_kernelILi64ELi16ELb0ELb1EPKPK19rocblas_complex_numIdEPKPS1_S6_EviT3_lllT4_lllT5_li.has_recursion, 0
	.set _ZL20rocblas_trmvn_kernelILi64ELi16ELb0ELb1EPKPK19rocblas_complex_numIdEPKPS1_S6_EviT3_lllT4_lllT5_li.has_indirect_call, 0
	.section	.AMDGPU.csdata,"",@progbits
; Kernel info:
; codeLenInByte = 1084
; TotalNumSgprs: 26
; NumVgprs: 32
; ScratchSize: 0
; MemoryBound: 1
; FloatMode: 240
; IeeeMode: 1
; LDSByteSize: 16384 bytes/workgroup (compile time only)
; SGPRBlocks: 0
; VGPRBlocks: 1
; NumSGPRsForWavesPerEU: 26
; NumVGPRsForWavesPerEU: 32
; NamedBarCnt: 0
; Occupancy: 16
; WaveLimiterHint : 1
; COMPUTE_PGM_RSRC2:SCRATCH_EN: 0
; COMPUTE_PGM_RSRC2:USER_SGPR: 2
; COMPUTE_PGM_RSRC2:TRAP_HANDLER: 0
; COMPUTE_PGM_RSRC2:TGID_X_EN: 1
; COMPUTE_PGM_RSRC2:TGID_Y_EN: 0
; COMPUTE_PGM_RSRC2:TGID_Z_EN: 1
; COMPUTE_PGM_RSRC2:TIDIG_COMP_CNT: 1
	.section	.text._ZL20rocblas_trmvt_kernelILi512ELb0ELb0ELb1EPKPK19rocblas_complex_numIdEPKPS1_S6_EviT3_lllT4_lllT5_li,"axG",@progbits,_ZL20rocblas_trmvt_kernelILi512ELb0ELb0ELb1EPKPK19rocblas_complex_numIdEPKPS1_S6_EviT3_lllT4_lllT5_li,comdat
	.globl	_ZL20rocblas_trmvt_kernelILi512ELb0ELb0ELb1EPKPK19rocblas_complex_numIdEPKPS1_S6_EviT3_lllT4_lllT5_li ; -- Begin function _ZL20rocblas_trmvt_kernelILi512ELb0ELb0ELb1EPKPK19rocblas_complex_numIdEPKPS1_S6_EviT3_lllT4_lllT5_li
	.p2align	8
	.type	_ZL20rocblas_trmvt_kernelILi512ELb0ELb0ELb1EPKPK19rocblas_complex_numIdEPKPS1_S6_EviT3_lllT4_lllT5_li,@function
_ZL20rocblas_trmvt_kernelILi512ELb0ELb0ELb1EPKPK19rocblas_complex_numIdEPKPS1_S6_EviT3_lllT4_lllT5_li: ; @_ZL20rocblas_trmvt_kernelILi512ELb0ELb0ELb1EPKPK19rocblas_complex_numIdEPKPS1_S6_EviT3_lllT4_lllT5_li
; %bb.0:
	s_load_b32 s24, s[0:1], 0x58
	s_bfe_u32 s2, ttmp6, 0x40014
	s_lshr_b32 s4, ttmp7, 16
	s_add_co_i32 s2, s2, 1
	s_bfe_u32 s5, ttmp6, 0x40008
	s_mul_i32 s2, s4, s2
	s_getreg_b32 s3, hwreg(HW_REG_IB_STS2, 6, 4)
	s_add_co_i32 s5, s5, s2
	s_cmp_eq_u32 s3, 0
	s_mov_b32 s17, 0
	s_cselect_b32 s16, s4, s5
	s_wait_kmcnt 0x0
	s_cmp_ge_u32 s16, s24
	s_cbranch_scc1 .LBB85_21
; %bb.1:
	s_clause 0x5
	s_load_b64 s[20:21], s[0:1], 0x38
	s_load_b32 s25, s[0:1], 0x0
	s_load_b128 s[8:11], s[0:1], 0x8
	s_load_b64 s[22:23], s[0:1], 0x18
	s_load_b128 s[12:15], s[0:1], 0x28
	s_load_b128 s[4:7], s[0:1], 0x48
	v_dual_mov_b32 v2, 0 :: v_dual_bitop2_b32 v3, 31, v0 bitop3:0x40
	v_mbcnt_lo_u32_b32 v12, -1, 0
	s_wait_xcnt 0x0
	s_bfe_u32 s1, ttmp6, 0x4000c
	s_delay_alu instid0(VALU_DEP_2)
	v_dual_mov_b32 v1, v2 :: v_dual_lshrrev_b32 v6, 1, v0
	s_add_co_i32 s2, s1, 1
	s_and_b32 s18, ttmp6, 15
	s_mul_i32 s19, ttmp9, s2
	v_cmp_gt_u32_e64 s2, 24, v12
	s_add_co_i32 s18, s18, s19
	s_cmp_eq_u32 s3, 0
	v_and_b32_e32 v17, 0xf0, v6
	s_cselect_b32 s18, ttmp9, s18
	s_wait_kmcnt 0x0
	v_mul_u64_e32 v[4:5], s[20:21], v[0:1]
	v_cndmask_b32_e64 v8, 0, 8, s2
	v_cmp_gt_u32_e64 s2, 28, v12
	v_cmp_gt_i32_e64 s3, s25, v0
	s_ashr_i32 s19, s18, 31
	v_dual_lshlrev_b32 v1, 4, v3 :: v_dual_mov_b32 v7, v2
	v_cndmask_b32_e64 v9, 0, 4, s2
	v_cmp_gt_u32_e64 s2, 30, v12
	s_mul_u64 s[22:23], s[22:23], s[18:19]
	s_lshl_b64 s[10:11], s[10:11], 4
	s_lshl_b64 s[22:23], s[22:23], 4
	v_add_lshl_u32 v18, v8, v12, 2
	v_cndmask_b32_e64 v13, 0, 2, s2
	v_cmp_ne_u32_e64 s2, 31, v12
	s_add_nc_u64 s[22:23], s[22:23], s[10:11]
	s_lshl_b64 s[10:11], s[14:15], 4
	v_add_lshl_u32 v19, v9, v12, 2
	v_cmp_gt_u32_e64 s0, 32, v0
	v_add_co_ci_u32_e64 v14, null, 0, v12, s2
	v_cmp_eq_u32_e64 s2, 0, v3
	v_cndmask_b32_e64 v3, 0, v0, s3
	v_cmp_gt_u32_e64 s1, 16, v0
	s_delay_alu instid0(VALU_DEP_4)
	v_lshlrev_b32_e32 v21, 2, v14
	v_lshl_or_b32 v16, v12, 2, 64
	v_add_lshl_u32 v20, v13, v12, 2
	s_lshl_b64 s[14:15], s[18:19], 4
	v_cmp_eq_u32_e32 vcc_lo, 0, v0
	s_add_nc_u64 s[14:15], s[4:5], s[14:15]
	v_lshl_add_u64 v[10:11], v[4:5], 4, s[10:11]
	s_delay_alu instid0(VALU_DEP_1) | instskip(NEXT) | instid1(VALU_DEP_1)
	v_dual_lshlrev_b32 v6, 4, v3 :: v_dual_bitop2_b32 v10, 8, v10 bitop3:0x54
	v_add_nc_u64_e32 v[8:9], s[22:23], v[6:7]
	s_mul_u64 s[22:23], s[20:21], s[18:19]
	s_lshl_b64 s[20:21], s[20:21], 13
	s_lshl_b64 s[22:23], s[22:23], 4
	s_delay_alu instid0(VALU_DEP_1)
	v_or_b32_e32 v8, 8, v8
	s_branch .LBB85_3
.LBB85_2:                               ;   in Loop: Header=BB85_3 Depth=1
	s_wait_xcnt 0x0
	s_or_b32 exec_lo, exec_lo, s4
	s_add_co_i32 s16, s16, 0x10000
	s_delay_alu instid0(SALU_CYCLE_1)
	s_cmp_lt_u32 s16, s24
	s_cbranch_scc0 .LBB85_21
.LBB85_3:                               ; =>This Loop Header: Depth=1
                                        ;     Child Loop BB85_15 Depth 2
	v_mov_b32_e32 v3, s16
	v_mov_b64_e32 v[12:13], 0
	s_wait_dscnt 0x0
	v_mov_b64_e32 v[6:7], 0
	s_clause 0x1
	global_load_b64 v[14:15], v3, s[8:9] scale_offset
	global_load_b64 v[4:5], v3, s[12:13] scale_offset
	s_wait_xcnt 0x0
	s_and_saveexec_b32 s4, vcc_lo
	s_cbranch_execnz .LBB85_12
; %bb.4:                                ;   in Loop: Header=BB85_3 Depth=1
	s_or_b32 exec_lo, exec_lo, s4
	s_and_saveexec_b32 s5, s3
	s_cbranch_execnz .LBB85_13
.LBB85_5:                               ;   in Loop: Header=BB85_3 Depth=1
	s_or_b32 exec_lo, exec_lo, s5
	s_and_saveexec_b32 s4, s0
	s_cbranch_execz .LBB85_7
.LBB85_6:                               ;   in Loop: Header=BB85_3 Depth=1
	s_wait_loadcnt 0x0
	v_dual_mov_b32 v3, v2 :: v_dual_mov_b32 v4, v2
	v_mov_b32_e32 v5, v2
	ds_store_b128 v1, v[2:5]
.LBB85_7:                               ;   in Loop: Header=BB85_3 Depth=1
	s_or_b32 exec_lo, exec_lo, s4
	s_wait_loadcnt 0x0
	ds_bpermute_b32 v4, v16, v12
	ds_bpermute_b32 v5, v16, v13
	;; [unrolled: 1-line block ×4, first 2 shown]
	s_wait_dscnt 0x0
	s_barrier_signal -1
	s_barrier_wait -1
	v_add_f64_e32 v[4:5], v[12:13], v[4:5]
	v_add_f64_e32 v[6:7], v[6:7], v[14:15]
	ds_bpermute_b32 v12, v18, v4
	ds_bpermute_b32 v13, v18, v5
	ds_bpermute_b32 v14, v18, v6
	ds_bpermute_b32 v15, v18, v7
	s_wait_dscnt 0x2
	v_add_f64_e32 v[4:5], v[4:5], v[12:13]
	s_wait_dscnt 0x0
	v_add_f64_e32 v[6:7], v[6:7], v[14:15]
	ds_bpermute_b32 v12, v19, v4
	ds_bpermute_b32 v13, v19, v5
	ds_bpermute_b32 v14, v19, v6
	ds_bpermute_b32 v15, v19, v7
	s_wait_dscnt 0x2
	v_add_f64_e32 v[4:5], v[4:5], v[12:13]
	s_wait_dscnt 0x0
	;; [unrolled: 8-line block ×3, first 2 shown]
	v_add_f64_e32 v[12:13], v[6:7], v[14:15]
	ds_bpermute_b32 v6, v21, v4
	ds_bpermute_b32 v7, v21, v5
	;; [unrolled: 1-line block ×4, first 2 shown]
	s_and_saveexec_b32 s4, s2
	s_cbranch_execz .LBB85_9
; %bb.8:                                ;   in Loop: Header=BB85_3 Depth=1
	s_wait_dscnt 0x0
	v_add_f64_e32 v[14:15], v[12:13], v[14:15]
	v_add_f64_e32 v[12:13], v[4:5], v[6:7]
	ds_store_b128 v17, v[12:15]
.LBB85_9:                               ;   in Loop: Header=BB85_3 Depth=1
	s_or_b32 exec_lo, exec_lo, s4
	s_wait_dscnt 0x2
	v_mov_b64_e32 v[6:7], 0
	v_mov_b64_e32 v[4:5], 0
	s_wait_dscnt 0x0
	s_barrier_signal -1
	s_barrier_wait -1
	s_and_saveexec_b32 s4, s1
	s_cbranch_execnz .LBB85_17
; %bb.10:                               ;   in Loop: Header=BB85_3 Depth=1
	s_or_b32 exec_lo, exec_lo, s4
	s_and_saveexec_b32 s4, s0
	s_cbranch_execnz .LBB85_18
.LBB85_11:                              ;   in Loop: Header=BB85_3 Depth=1
	s_or_b32 exec_lo, exec_lo, s4
	s_and_saveexec_b32 s4, vcc_lo
	s_cbranch_execz .LBB85_2
	s_branch .LBB85_19
.LBB85_12:                              ;   in Loop: Header=BB85_3 Depth=1
	s_wait_loadcnt 0x0
	v_add_nc_u64_e32 v[6:7], s[10:11], v[4:5]
	s_delay_alu instid0(VALU_DEP_1)
	v_add_nc_u64_e32 v[6:7], s[22:23], v[6:7]
	flat_load_b128 v[22:25], v[6:7]
	s_wait_loadcnt_dscnt 0x0
	v_add_f64_e32 v[12:13], 0, v[22:23]
	s_wait_xcnt 0x0
	v_add_f64_e32 v[6:7], 0, v[24:25]
	s_or_b32 exec_lo, exec_lo, s4
	s_and_saveexec_b32 s5, s3
	s_cbranch_execz .LBB85_5
.LBB85_13:                              ;   in Loop: Header=BB85_3 Depth=1
	s_wait_loadcnt 0x0
	v_add_nc_u64_e32 v[4:5], v[4:5], v[10:11]
	v_add_nc_u64_e32 v[14:15], v[14:15], v[8:9]
	v_mov_b32_e32 v3, v0
	s_mov_b32 s19, 0
	s_branch .LBB85_15
.LBB85_14:                              ;   in Loop: Header=BB85_15 Depth=2
	s_wait_xcnt 0x0
	s_or_b32 exec_lo, exec_lo, s26
	v_add_nc_u32_e32 v3, 0x200, v3
	v_add_nc_u64_e32 v[4:5], s[20:21], v[4:5]
	v_add_nc_u64_e32 v[14:15], 0x2000, v[14:15]
	s_delay_alu instid0(VALU_DEP_3) | instskip(SKIP_1) | instid1(SALU_CYCLE_1)
	v_cmp_le_i32_e64 s4, s25, v3
	s_or_b32 s19, s4, s19
	s_and_not1_b32 exec_lo, exec_lo, s19
	s_cbranch_execz .LBB85_20
.LBB85_15:                              ;   Parent Loop BB85_3 Depth=1
                                        ; =>  This Inner Loop Header: Depth=2
	s_mov_b32 s26, exec_lo
	s_delay_alu instid0(VALU_DEP_1)
	v_cmpx_gt_i32_e64 s18, v3
	s_cbranch_execz .LBB85_14
; %bb.16:                               ;   in Loop: Header=BB85_15 Depth=2
	flat_load_b128 v[22:25], v[14:15] offset:-8
	flat_load_b128 v[26:29], v[4:5] offset:-8
	s_wait_loadcnt_dscnt 0x0
	v_mul_f64_e32 v[30:31], v[24:25], v[28:29]
	v_mul_f64_e32 v[28:29], v[22:23], v[28:29]
	s_delay_alu instid0(VALU_DEP_2) | instskip(NEXT) | instid1(VALU_DEP_2)
	v_fma_f64 v[22:23], v[22:23], v[26:27], -v[30:31]
	v_fmac_f64_e32 v[28:29], v[24:25], v[26:27]
	s_delay_alu instid0(VALU_DEP_2) | instskip(NEXT) | instid1(VALU_DEP_2)
	v_add_f64_e32 v[12:13], v[12:13], v[22:23]
	v_add_f64_e32 v[6:7], v[6:7], v[28:29]
	s_branch .LBB85_14
.LBB85_17:                              ;   in Loop: Header=BB85_3 Depth=1
	ds_load_b128 v[4:7], v1
	s_or_b32 exec_lo, exec_lo, s4
	s_and_saveexec_b32 s4, s0
	s_cbranch_execz .LBB85_11
.LBB85_18:                              ;   in Loop: Header=BB85_3 Depth=1
	s_wait_dscnt 0x0
	ds_bpermute_b32 v12, v18, v4
	ds_bpermute_b32 v13, v18, v5
	ds_bpermute_b32 v14, v18, v6
	ds_bpermute_b32 v15, v18, v7
	s_wait_dscnt 0x2
	v_add_f64_e32 v[4:5], v[4:5], v[12:13]
	s_wait_dscnt 0x0
	v_add_f64_e32 v[6:7], v[6:7], v[14:15]
	ds_bpermute_b32 v12, v19, v4
	ds_bpermute_b32 v13, v19, v5
	ds_bpermute_b32 v14, v19, v6
	ds_bpermute_b32 v15, v19, v7
	s_wait_dscnt 0x2
	v_add_f64_e32 v[4:5], v[4:5], v[12:13]
	s_wait_dscnt 0x0
	v_add_f64_e32 v[6:7], v[6:7], v[14:15]
	;; [unrolled: 8-line block ×4, first 2 shown]
	s_or_b32 exec_lo, exec_lo, s4
	s_and_saveexec_b32 s4, vcc_lo
	s_cbranch_execz .LBB85_2
.LBB85_19:                              ;   in Loop: Header=BB85_3 Depth=1
	s_mul_u64 s[26:27], s[6:7], s[16:17]
	s_delay_alu instid0(SALU_CYCLE_1) | instskip(NEXT) | instid1(SALU_CYCLE_1)
	s_lshl_b64 s[26:27], s[26:27], 4
	s_add_nc_u64 s[26:27], s[14:15], s[26:27]
	s_wait_dscnt 0x0
	global_store_b128 v2, v[4:7], s[26:27]
	s_branch .LBB85_2
.LBB85_20:                              ;   in Loop: Header=BB85_3 Depth=1
	s_or_b32 exec_lo, exec_lo, s19
	s_delay_alu instid0(SALU_CYCLE_1)
	s_or_b32 exec_lo, exec_lo, s5
	s_and_saveexec_b32 s4, s0
	s_cbranch_execnz .LBB85_6
	s_branch .LBB85_7
.LBB85_21:
	s_endpgm
	.section	.rodata,"a",@progbits
	.p2align	6, 0x0
	.amdhsa_kernel _ZL20rocblas_trmvt_kernelILi512ELb0ELb0ELb1EPKPK19rocblas_complex_numIdEPKPS1_S6_EviT3_lllT4_lllT5_li
		.amdhsa_group_segment_fixed_size 512
		.amdhsa_private_segment_fixed_size 0
		.amdhsa_kernarg_size 92
		.amdhsa_user_sgpr_count 2
		.amdhsa_user_sgpr_dispatch_ptr 0
		.amdhsa_user_sgpr_queue_ptr 0
		.amdhsa_user_sgpr_kernarg_segment_ptr 1
		.amdhsa_user_sgpr_dispatch_id 0
		.amdhsa_user_sgpr_kernarg_preload_length 0
		.amdhsa_user_sgpr_kernarg_preload_offset 0
		.amdhsa_user_sgpr_private_segment_size 0
		.amdhsa_wavefront_size32 1
		.amdhsa_uses_dynamic_stack 0
		.amdhsa_enable_private_segment 0
		.amdhsa_system_sgpr_workgroup_id_x 1
		.amdhsa_system_sgpr_workgroup_id_y 0
		.amdhsa_system_sgpr_workgroup_id_z 1
		.amdhsa_system_sgpr_workgroup_info 0
		.amdhsa_system_vgpr_workitem_id 0
		.amdhsa_next_free_vgpr 32
		.amdhsa_next_free_sgpr 28
		.amdhsa_named_barrier_count 0
		.amdhsa_reserve_vcc 1
		.amdhsa_float_round_mode_32 0
		.amdhsa_float_round_mode_16_64 0
		.amdhsa_float_denorm_mode_32 3
		.amdhsa_float_denorm_mode_16_64 3
		.amdhsa_fp16_overflow 0
		.amdhsa_memory_ordered 1
		.amdhsa_forward_progress 1
		.amdhsa_inst_pref_size 12
		.amdhsa_round_robin_scheduling 0
		.amdhsa_exception_fp_ieee_invalid_op 0
		.amdhsa_exception_fp_denorm_src 0
		.amdhsa_exception_fp_ieee_div_zero 0
		.amdhsa_exception_fp_ieee_overflow 0
		.amdhsa_exception_fp_ieee_underflow 0
		.amdhsa_exception_fp_ieee_inexact 0
		.amdhsa_exception_int_div_zero 0
	.end_amdhsa_kernel
	.section	.text._ZL20rocblas_trmvt_kernelILi512ELb0ELb0ELb1EPKPK19rocblas_complex_numIdEPKPS1_S6_EviT3_lllT4_lllT5_li,"axG",@progbits,_ZL20rocblas_trmvt_kernelILi512ELb0ELb0ELb1EPKPK19rocblas_complex_numIdEPKPS1_S6_EviT3_lllT4_lllT5_li,comdat
.Lfunc_end85:
	.size	_ZL20rocblas_trmvt_kernelILi512ELb0ELb0ELb1EPKPK19rocblas_complex_numIdEPKPS1_S6_EviT3_lllT4_lllT5_li, .Lfunc_end85-_ZL20rocblas_trmvt_kernelILi512ELb0ELb0ELb1EPKPK19rocblas_complex_numIdEPKPS1_S6_EviT3_lllT4_lllT5_li
                                        ; -- End function
	.set _ZL20rocblas_trmvt_kernelILi512ELb0ELb0ELb1EPKPK19rocblas_complex_numIdEPKPS1_S6_EviT3_lllT4_lllT5_li.num_vgpr, 32
	.set _ZL20rocblas_trmvt_kernelILi512ELb0ELb0ELb1EPKPK19rocblas_complex_numIdEPKPS1_S6_EviT3_lllT4_lllT5_li.num_agpr, 0
	.set _ZL20rocblas_trmvt_kernelILi512ELb0ELb0ELb1EPKPK19rocblas_complex_numIdEPKPS1_S6_EviT3_lllT4_lllT5_li.numbered_sgpr, 28
	.set _ZL20rocblas_trmvt_kernelILi512ELb0ELb0ELb1EPKPK19rocblas_complex_numIdEPKPS1_S6_EviT3_lllT4_lllT5_li.num_named_barrier, 0
	.set _ZL20rocblas_trmvt_kernelILi512ELb0ELb0ELb1EPKPK19rocblas_complex_numIdEPKPS1_S6_EviT3_lllT4_lllT5_li.private_seg_size, 0
	.set _ZL20rocblas_trmvt_kernelILi512ELb0ELb0ELb1EPKPK19rocblas_complex_numIdEPKPS1_S6_EviT3_lllT4_lllT5_li.uses_vcc, 1
	.set _ZL20rocblas_trmvt_kernelILi512ELb0ELb0ELb1EPKPK19rocblas_complex_numIdEPKPS1_S6_EviT3_lllT4_lllT5_li.uses_flat_scratch, 0
	.set _ZL20rocblas_trmvt_kernelILi512ELb0ELb0ELb1EPKPK19rocblas_complex_numIdEPKPS1_S6_EviT3_lllT4_lllT5_li.has_dyn_sized_stack, 0
	.set _ZL20rocblas_trmvt_kernelILi512ELb0ELb0ELb1EPKPK19rocblas_complex_numIdEPKPS1_S6_EviT3_lllT4_lllT5_li.has_recursion, 0
	.set _ZL20rocblas_trmvt_kernelILi512ELb0ELb0ELb1EPKPK19rocblas_complex_numIdEPKPS1_S6_EviT3_lllT4_lllT5_li.has_indirect_call, 0
	.section	.AMDGPU.csdata,"",@progbits
; Kernel info:
; codeLenInByte = 1420
; TotalNumSgprs: 30
; NumVgprs: 32
; ScratchSize: 0
; MemoryBound: 0
; FloatMode: 240
; IeeeMode: 1
; LDSByteSize: 512 bytes/workgroup (compile time only)
; SGPRBlocks: 0
; VGPRBlocks: 1
; NumSGPRsForWavesPerEU: 30
; NumVGPRsForWavesPerEU: 32
; NamedBarCnt: 0
; Occupancy: 16
; WaveLimiterHint : 1
; COMPUTE_PGM_RSRC2:SCRATCH_EN: 0
; COMPUTE_PGM_RSRC2:USER_SGPR: 2
; COMPUTE_PGM_RSRC2:TRAP_HANDLER: 0
; COMPUTE_PGM_RSRC2:TGID_X_EN: 1
; COMPUTE_PGM_RSRC2:TGID_Y_EN: 0
; COMPUTE_PGM_RSRC2:TGID_Z_EN: 1
; COMPUTE_PGM_RSRC2:TIDIG_COMP_CNT: 0
	.section	.text._ZL20rocblas_trmvt_kernelILi512ELb0ELb1ELb1EPKPK19rocblas_complex_numIdEPKPS1_S6_EviT3_lllT4_lllT5_li,"axG",@progbits,_ZL20rocblas_trmvt_kernelILi512ELb0ELb1ELb1EPKPK19rocblas_complex_numIdEPKPS1_S6_EviT3_lllT4_lllT5_li,comdat
	.globl	_ZL20rocblas_trmvt_kernelILi512ELb0ELb1ELb1EPKPK19rocblas_complex_numIdEPKPS1_S6_EviT3_lllT4_lllT5_li ; -- Begin function _ZL20rocblas_trmvt_kernelILi512ELb0ELb1ELb1EPKPK19rocblas_complex_numIdEPKPS1_S6_EviT3_lllT4_lllT5_li
	.p2align	8
	.type	_ZL20rocblas_trmvt_kernelILi512ELb0ELb1ELb1EPKPK19rocblas_complex_numIdEPKPS1_S6_EviT3_lllT4_lllT5_li,@function
_ZL20rocblas_trmvt_kernelILi512ELb0ELb1ELb1EPKPK19rocblas_complex_numIdEPKPS1_S6_EviT3_lllT4_lllT5_li: ; @_ZL20rocblas_trmvt_kernelILi512ELb0ELb1ELb1EPKPK19rocblas_complex_numIdEPKPS1_S6_EviT3_lllT4_lllT5_li
; %bb.0:
	s_load_b32 s24, s[0:1], 0x58
	s_bfe_u32 s2, ttmp6, 0x40014
	s_lshr_b32 s4, ttmp7, 16
	s_add_co_i32 s2, s2, 1
	s_bfe_u32 s5, ttmp6, 0x40008
	s_mul_i32 s2, s4, s2
	s_getreg_b32 s3, hwreg(HW_REG_IB_STS2, 6, 4)
	s_add_co_i32 s5, s5, s2
	s_cmp_eq_u32 s3, 0
	s_mov_b32 s17, 0
	s_cselect_b32 s16, s4, s5
	s_wait_kmcnt 0x0
	s_cmp_ge_u32 s16, s24
	s_cbranch_scc1 .LBB86_21
; %bb.1:
	s_clause 0x5
	s_load_b64 s[20:21], s[0:1], 0x38
	s_load_b32 s25, s[0:1], 0x0
	s_load_b128 s[8:11], s[0:1], 0x8
	s_load_b64 s[22:23], s[0:1], 0x18
	s_load_b128 s[12:15], s[0:1], 0x28
	s_load_b128 s[4:7], s[0:1], 0x48
	v_dual_mov_b32 v2, 0 :: v_dual_bitop2_b32 v3, 31, v0 bitop3:0x40
	v_mbcnt_lo_u32_b32 v12, -1, 0
	s_wait_xcnt 0x0
	s_bfe_u32 s1, ttmp6, 0x4000c
	s_delay_alu instid0(VALU_DEP_2)
	v_dual_mov_b32 v1, v2 :: v_dual_lshrrev_b32 v6, 1, v0
	s_add_co_i32 s2, s1, 1
	s_and_b32 s18, ttmp6, 15
	s_mul_i32 s19, ttmp9, s2
	v_cmp_gt_u32_e64 s2, 24, v12
	s_add_co_i32 s18, s18, s19
	s_cmp_eq_u32 s3, 0
	v_and_b32_e32 v17, 0xf0, v6
	s_cselect_b32 s18, ttmp9, s18
	s_wait_kmcnt 0x0
	v_mul_u64_e32 v[4:5], s[20:21], v[0:1]
	v_cndmask_b32_e64 v8, 0, 8, s2
	v_cmp_gt_u32_e64 s2, 28, v12
	v_cmp_gt_i32_e64 s3, s25, v0
	s_ashr_i32 s19, s18, 31
	v_dual_lshlrev_b32 v1, 4, v3 :: v_dual_mov_b32 v7, v2
	v_cndmask_b32_e64 v9, 0, 4, s2
	v_cmp_gt_u32_e64 s2, 30, v12
	s_mul_u64 s[22:23], s[22:23], s[18:19]
	s_lshl_b64 s[10:11], s[10:11], 4
	s_lshl_b64 s[22:23], s[22:23], 4
	v_add_lshl_u32 v18, v8, v12, 2
	v_cndmask_b32_e64 v13, 0, 2, s2
	v_cmp_ne_u32_e64 s2, 31, v12
	s_add_nc_u64 s[22:23], s[22:23], s[10:11]
	s_lshl_b64 s[10:11], s[14:15], 4
	v_add_lshl_u32 v19, v9, v12, 2
	v_cmp_gt_u32_e64 s0, 32, v0
	v_add_co_ci_u32_e64 v14, null, 0, v12, s2
	v_cmp_eq_u32_e64 s2, 0, v3
	v_cndmask_b32_e64 v3, 0, v0, s3
	v_cmp_gt_u32_e64 s1, 16, v0
	s_delay_alu instid0(VALU_DEP_4)
	v_lshlrev_b32_e32 v21, 2, v14
	v_lshl_or_b32 v16, v12, 2, 64
	v_add_lshl_u32 v20, v13, v12, 2
	s_lshl_b64 s[14:15], s[18:19], 4
	v_cmp_eq_u32_e32 vcc_lo, 0, v0
	s_add_nc_u64 s[14:15], s[4:5], s[14:15]
	v_lshl_add_u64 v[10:11], v[4:5], 4, s[10:11]
	s_delay_alu instid0(VALU_DEP_1) | instskip(NEXT) | instid1(VALU_DEP_1)
	v_dual_lshlrev_b32 v6, 4, v3 :: v_dual_bitop2_b32 v10, 8, v10 bitop3:0x54
	v_add_nc_u64_e32 v[8:9], s[22:23], v[6:7]
	s_mul_u64 s[22:23], s[20:21], s[18:19]
	s_lshl_b64 s[20:21], s[20:21], 13
	s_lshl_b64 s[22:23], s[22:23], 4
	s_delay_alu instid0(VALU_DEP_1)
	v_or_b32_e32 v8, 8, v8
	s_branch .LBB86_3
.LBB86_2:                               ;   in Loop: Header=BB86_3 Depth=1
	s_wait_xcnt 0x0
	s_or_b32 exec_lo, exec_lo, s4
	s_add_co_i32 s16, s16, 0x10000
	s_delay_alu instid0(SALU_CYCLE_1)
	s_cmp_lt_u32 s16, s24
	s_cbranch_scc0 .LBB86_21
.LBB86_3:                               ; =>This Loop Header: Depth=1
                                        ;     Child Loop BB86_15 Depth 2
	v_mov_b32_e32 v3, s16
	v_mov_b64_e32 v[12:13], 0
	s_wait_dscnt 0x0
	v_mov_b64_e32 v[6:7], 0
	s_clause 0x1
	global_load_b64 v[14:15], v3, s[8:9] scale_offset
	global_load_b64 v[4:5], v3, s[12:13] scale_offset
	s_wait_xcnt 0x0
	s_and_saveexec_b32 s4, vcc_lo
	s_cbranch_execnz .LBB86_12
; %bb.4:                                ;   in Loop: Header=BB86_3 Depth=1
	s_or_b32 exec_lo, exec_lo, s4
	s_and_saveexec_b32 s5, s3
	s_cbranch_execnz .LBB86_13
.LBB86_5:                               ;   in Loop: Header=BB86_3 Depth=1
	s_or_b32 exec_lo, exec_lo, s5
	s_and_saveexec_b32 s4, s0
	s_cbranch_execz .LBB86_7
.LBB86_6:                               ;   in Loop: Header=BB86_3 Depth=1
	s_wait_loadcnt 0x0
	v_dual_mov_b32 v3, v2 :: v_dual_mov_b32 v4, v2
	v_mov_b32_e32 v5, v2
	ds_store_b128 v1, v[2:5]
.LBB86_7:                               ;   in Loop: Header=BB86_3 Depth=1
	s_or_b32 exec_lo, exec_lo, s4
	s_wait_loadcnt 0x0
	ds_bpermute_b32 v4, v16, v12
	ds_bpermute_b32 v5, v16, v13
	;; [unrolled: 1-line block ×4, first 2 shown]
	s_wait_dscnt 0x0
	s_barrier_signal -1
	s_barrier_wait -1
	v_add_f64_e32 v[4:5], v[12:13], v[4:5]
	v_add_f64_e32 v[6:7], v[6:7], v[14:15]
	ds_bpermute_b32 v12, v18, v4
	ds_bpermute_b32 v13, v18, v5
	ds_bpermute_b32 v14, v18, v6
	ds_bpermute_b32 v15, v18, v7
	s_wait_dscnt 0x2
	v_add_f64_e32 v[4:5], v[4:5], v[12:13]
	s_wait_dscnt 0x0
	v_add_f64_e32 v[6:7], v[6:7], v[14:15]
	ds_bpermute_b32 v12, v19, v4
	ds_bpermute_b32 v13, v19, v5
	ds_bpermute_b32 v14, v19, v6
	ds_bpermute_b32 v15, v19, v7
	s_wait_dscnt 0x2
	v_add_f64_e32 v[4:5], v[4:5], v[12:13]
	s_wait_dscnt 0x0
	;; [unrolled: 8-line block ×3, first 2 shown]
	v_add_f64_e32 v[12:13], v[6:7], v[14:15]
	ds_bpermute_b32 v6, v21, v4
	ds_bpermute_b32 v7, v21, v5
	;; [unrolled: 1-line block ×4, first 2 shown]
	s_and_saveexec_b32 s4, s2
	s_cbranch_execz .LBB86_9
; %bb.8:                                ;   in Loop: Header=BB86_3 Depth=1
	s_wait_dscnt 0x0
	v_add_f64_e32 v[14:15], v[12:13], v[14:15]
	v_add_f64_e32 v[12:13], v[4:5], v[6:7]
	ds_store_b128 v17, v[12:15]
.LBB86_9:                               ;   in Loop: Header=BB86_3 Depth=1
	s_or_b32 exec_lo, exec_lo, s4
	s_wait_dscnt 0x2
	v_mov_b64_e32 v[6:7], 0
	v_mov_b64_e32 v[4:5], 0
	s_wait_dscnt 0x0
	s_barrier_signal -1
	s_barrier_wait -1
	s_and_saveexec_b32 s4, s1
	s_cbranch_execnz .LBB86_17
; %bb.10:                               ;   in Loop: Header=BB86_3 Depth=1
	s_or_b32 exec_lo, exec_lo, s4
	s_and_saveexec_b32 s4, s0
	s_cbranch_execnz .LBB86_18
.LBB86_11:                              ;   in Loop: Header=BB86_3 Depth=1
	s_or_b32 exec_lo, exec_lo, s4
	s_and_saveexec_b32 s4, vcc_lo
	s_cbranch_execz .LBB86_2
	s_branch .LBB86_19
.LBB86_12:                              ;   in Loop: Header=BB86_3 Depth=1
	s_wait_loadcnt 0x0
	v_add_nc_u64_e32 v[6:7], s[10:11], v[4:5]
	s_delay_alu instid0(VALU_DEP_1)
	v_add_nc_u64_e32 v[6:7], s[22:23], v[6:7]
	flat_load_b128 v[22:25], v[6:7]
	s_wait_loadcnt_dscnt 0x0
	v_add_f64_e32 v[12:13], 0, v[22:23]
	s_wait_xcnt 0x0
	v_add_f64_e32 v[6:7], 0, v[24:25]
	s_or_b32 exec_lo, exec_lo, s4
	s_and_saveexec_b32 s5, s3
	s_cbranch_execz .LBB86_5
.LBB86_13:                              ;   in Loop: Header=BB86_3 Depth=1
	s_wait_loadcnt 0x0
	v_add_nc_u64_e32 v[4:5], v[4:5], v[10:11]
	v_add_nc_u64_e32 v[14:15], v[14:15], v[8:9]
	v_mov_b32_e32 v3, v0
	s_mov_b32 s19, 0
	s_branch .LBB86_15
.LBB86_14:                              ;   in Loop: Header=BB86_15 Depth=2
	s_wait_xcnt 0x0
	s_or_b32 exec_lo, exec_lo, s26
	v_add_nc_u32_e32 v3, 0x200, v3
	v_add_nc_u64_e32 v[4:5], s[20:21], v[4:5]
	v_add_nc_u64_e32 v[14:15], 0x2000, v[14:15]
	s_delay_alu instid0(VALU_DEP_3) | instskip(SKIP_1) | instid1(SALU_CYCLE_1)
	v_cmp_le_i32_e64 s4, s25, v3
	s_or_b32 s19, s4, s19
	s_and_not1_b32 exec_lo, exec_lo, s19
	s_cbranch_execz .LBB86_20
.LBB86_15:                              ;   Parent Loop BB86_3 Depth=1
                                        ; =>  This Inner Loop Header: Depth=2
	s_mov_b32 s26, exec_lo
	s_delay_alu instid0(VALU_DEP_1)
	v_cmpx_gt_i32_e64 s18, v3
	s_cbranch_execz .LBB86_14
; %bb.16:                               ;   in Loop: Header=BB86_15 Depth=2
	flat_load_b128 v[22:25], v[14:15] offset:-8
	flat_load_b128 v[26:29], v[4:5] offset:-8
	s_wait_loadcnt_dscnt 0x0
	v_mul_f64_e32 v[30:31], v[24:25], v[28:29]
	v_mul_f64_e32 v[24:25], v[24:25], v[26:27]
	s_delay_alu instid0(VALU_DEP_2) | instskip(NEXT) | instid1(VALU_DEP_2)
	v_fmac_f64_e32 v[30:31], v[22:23], v[26:27]
	v_fma_f64 v[22:23], v[22:23], v[28:29], -v[24:25]
	s_delay_alu instid0(VALU_DEP_2) | instskip(NEXT) | instid1(VALU_DEP_2)
	v_add_f64_e32 v[12:13], v[12:13], v[30:31]
	v_add_f64_e32 v[6:7], v[6:7], v[22:23]
	s_branch .LBB86_14
.LBB86_17:                              ;   in Loop: Header=BB86_3 Depth=1
	ds_load_b128 v[4:7], v1
	s_or_b32 exec_lo, exec_lo, s4
	s_and_saveexec_b32 s4, s0
	s_cbranch_execz .LBB86_11
.LBB86_18:                              ;   in Loop: Header=BB86_3 Depth=1
	s_wait_dscnt 0x0
	ds_bpermute_b32 v12, v18, v4
	ds_bpermute_b32 v13, v18, v5
	ds_bpermute_b32 v14, v18, v6
	ds_bpermute_b32 v15, v18, v7
	s_wait_dscnt 0x2
	v_add_f64_e32 v[4:5], v[4:5], v[12:13]
	s_wait_dscnt 0x0
	v_add_f64_e32 v[6:7], v[6:7], v[14:15]
	ds_bpermute_b32 v12, v19, v4
	ds_bpermute_b32 v13, v19, v5
	ds_bpermute_b32 v14, v19, v6
	ds_bpermute_b32 v15, v19, v7
	s_wait_dscnt 0x2
	v_add_f64_e32 v[4:5], v[4:5], v[12:13]
	s_wait_dscnt 0x0
	v_add_f64_e32 v[6:7], v[6:7], v[14:15]
	;; [unrolled: 8-line block ×4, first 2 shown]
	s_or_b32 exec_lo, exec_lo, s4
	s_and_saveexec_b32 s4, vcc_lo
	s_cbranch_execz .LBB86_2
.LBB86_19:                              ;   in Loop: Header=BB86_3 Depth=1
	s_mul_u64 s[26:27], s[6:7], s[16:17]
	s_delay_alu instid0(SALU_CYCLE_1) | instskip(NEXT) | instid1(SALU_CYCLE_1)
	s_lshl_b64 s[26:27], s[26:27], 4
	s_add_nc_u64 s[26:27], s[14:15], s[26:27]
	s_wait_dscnt 0x0
	global_store_b128 v2, v[4:7], s[26:27]
	s_branch .LBB86_2
.LBB86_20:                              ;   in Loop: Header=BB86_3 Depth=1
	s_or_b32 exec_lo, exec_lo, s19
	s_delay_alu instid0(SALU_CYCLE_1)
	s_or_b32 exec_lo, exec_lo, s5
	s_and_saveexec_b32 s4, s0
	s_cbranch_execnz .LBB86_6
	s_branch .LBB86_7
.LBB86_21:
	s_endpgm
	.section	.rodata,"a",@progbits
	.p2align	6, 0x0
	.amdhsa_kernel _ZL20rocblas_trmvt_kernelILi512ELb0ELb1ELb1EPKPK19rocblas_complex_numIdEPKPS1_S6_EviT3_lllT4_lllT5_li
		.amdhsa_group_segment_fixed_size 512
		.amdhsa_private_segment_fixed_size 0
		.amdhsa_kernarg_size 92
		.amdhsa_user_sgpr_count 2
		.amdhsa_user_sgpr_dispatch_ptr 0
		.amdhsa_user_sgpr_queue_ptr 0
		.amdhsa_user_sgpr_kernarg_segment_ptr 1
		.amdhsa_user_sgpr_dispatch_id 0
		.amdhsa_user_sgpr_kernarg_preload_length 0
		.amdhsa_user_sgpr_kernarg_preload_offset 0
		.amdhsa_user_sgpr_private_segment_size 0
		.amdhsa_wavefront_size32 1
		.amdhsa_uses_dynamic_stack 0
		.amdhsa_enable_private_segment 0
		.amdhsa_system_sgpr_workgroup_id_x 1
		.amdhsa_system_sgpr_workgroup_id_y 0
		.amdhsa_system_sgpr_workgroup_id_z 1
		.amdhsa_system_sgpr_workgroup_info 0
		.amdhsa_system_vgpr_workitem_id 0
		.amdhsa_next_free_vgpr 32
		.amdhsa_next_free_sgpr 28
		.amdhsa_named_barrier_count 0
		.amdhsa_reserve_vcc 1
		.amdhsa_float_round_mode_32 0
		.amdhsa_float_round_mode_16_64 0
		.amdhsa_float_denorm_mode_32 3
		.amdhsa_float_denorm_mode_16_64 3
		.amdhsa_fp16_overflow 0
		.amdhsa_memory_ordered 1
		.amdhsa_forward_progress 1
		.amdhsa_inst_pref_size 12
		.amdhsa_round_robin_scheduling 0
		.amdhsa_exception_fp_ieee_invalid_op 0
		.amdhsa_exception_fp_denorm_src 0
		.amdhsa_exception_fp_ieee_div_zero 0
		.amdhsa_exception_fp_ieee_overflow 0
		.amdhsa_exception_fp_ieee_underflow 0
		.amdhsa_exception_fp_ieee_inexact 0
		.amdhsa_exception_int_div_zero 0
	.end_amdhsa_kernel
	.section	.text._ZL20rocblas_trmvt_kernelILi512ELb0ELb1ELb1EPKPK19rocblas_complex_numIdEPKPS1_S6_EviT3_lllT4_lllT5_li,"axG",@progbits,_ZL20rocblas_trmvt_kernelILi512ELb0ELb1ELb1EPKPK19rocblas_complex_numIdEPKPS1_S6_EviT3_lllT4_lllT5_li,comdat
.Lfunc_end86:
	.size	_ZL20rocblas_trmvt_kernelILi512ELb0ELb1ELb1EPKPK19rocblas_complex_numIdEPKPS1_S6_EviT3_lllT4_lllT5_li, .Lfunc_end86-_ZL20rocblas_trmvt_kernelILi512ELb0ELb1ELb1EPKPK19rocblas_complex_numIdEPKPS1_S6_EviT3_lllT4_lllT5_li
                                        ; -- End function
	.set _ZL20rocblas_trmvt_kernelILi512ELb0ELb1ELb1EPKPK19rocblas_complex_numIdEPKPS1_S6_EviT3_lllT4_lllT5_li.num_vgpr, 32
	.set _ZL20rocblas_trmvt_kernelILi512ELb0ELb1ELb1EPKPK19rocblas_complex_numIdEPKPS1_S6_EviT3_lllT4_lllT5_li.num_agpr, 0
	.set _ZL20rocblas_trmvt_kernelILi512ELb0ELb1ELb1EPKPK19rocblas_complex_numIdEPKPS1_S6_EviT3_lllT4_lllT5_li.numbered_sgpr, 28
	.set _ZL20rocblas_trmvt_kernelILi512ELb0ELb1ELb1EPKPK19rocblas_complex_numIdEPKPS1_S6_EviT3_lllT4_lllT5_li.num_named_barrier, 0
	.set _ZL20rocblas_trmvt_kernelILi512ELb0ELb1ELb1EPKPK19rocblas_complex_numIdEPKPS1_S6_EviT3_lllT4_lllT5_li.private_seg_size, 0
	.set _ZL20rocblas_trmvt_kernelILi512ELb0ELb1ELb1EPKPK19rocblas_complex_numIdEPKPS1_S6_EviT3_lllT4_lllT5_li.uses_vcc, 1
	.set _ZL20rocblas_trmvt_kernelILi512ELb0ELb1ELb1EPKPK19rocblas_complex_numIdEPKPS1_S6_EviT3_lllT4_lllT5_li.uses_flat_scratch, 0
	.set _ZL20rocblas_trmvt_kernelILi512ELb0ELb1ELb1EPKPK19rocblas_complex_numIdEPKPS1_S6_EviT3_lllT4_lllT5_li.has_dyn_sized_stack, 0
	.set _ZL20rocblas_trmvt_kernelILi512ELb0ELb1ELb1EPKPK19rocblas_complex_numIdEPKPS1_S6_EviT3_lllT4_lllT5_li.has_recursion, 0
	.set _ZL20rocblas_trmvt_kernelILi512ELb0ELb1ELb1EPKPK19rocblas_complex_numIdEPKPS1_S6_EviT3_lllT4_lllT5_li.has_indirect_call, 0
	.section	.AMDGPU.csdata,"",@progbits
; Kernel info:
; codeLenInByte = 1420
; TotalNumSgprs: 30
; NumVgprs: 32
; ScratchSize: 0
; MemoryBound: 0
; FloatMode: 240
; IeeeMode: 1
; LDSByteSize: 512 bytes/workgroup (compile time only)
; SGPRBlocks: 0
; VGPRBlocks: 1
; NumSGPRsForWavesPerEU: 30
; NumVGPRsForWavesPerEU: 32
; NamedBarCnt: 0
; Occupancy: 16
; WaveLimiterHint : 1
; COMPUTE_PGM_RSRC2:SCRATCH_EN: 0
; COMPUTE_PGM_RSRC2:USER_SGPR: 2
; COMPUTE_PGM_RSRC2:TRAP_HANDLER: 0
; COMPUTE_PGM_RSRC2:TGID_X_EN: 1
; COMPUTE_PGM_RSRC2:TGID_Y_EN: 0
; COMPUTE_PGM_RSRC2:TGID_Z_EN: 1
; COMPUTE_PGM_RSRC2:TIDIG_COMP_CNT: 0
	.section	.text._ZL20rocblas_trmvn_kernelILi64ELi16ELb0ELb0EPKPK19rocblas_complex_numIdEPKPS1_S6_EviT3_lllT4_lllT5_li,"axG",@progbits,_ZL20rocblas_trmvn_kernelILi64ELi16ELb0ELb0EPKPK19rocblas_complex_numIdEPKPS1_S6_EviT3_lllT4_lllT5_li,comdat
	.globl	_ZL20rocblas_trmvn_kernelILi64ELi16ELb0ELb0EPKPK19rocblas_complex_numIdEPKPS1_S6_EviT3_lllT4_lllT5_li ; -- Begin function _ZL20rocblas_trmvn_kernelILi64ELi16ELb0ELb0EPKPK19rocblas_complex_numIdEPKPS1_S6_EviT3_lllT4_lllT5_li
	.p2align	8
	.type	_ZL20rocblas_trmvn_kernelILi64ELi16ELb0ELb0EPKPK19rocblas_complex_numIdEPKPS1_S6_EviT3_lllT4_lllT5_li,@function
_ZL20rocblas_trmvn_kernelILi64ELi16ELb0ELb0EPKPK19rocblas_complex_numIdEPKPS1_S6_EviT3_lllT4_lllT5_li: ; @_ZL20rocblas_trmvn_kernelILi64ELi16ELb0ELb0EPKPK19rocblas_complex_numIdEPKPS1_S6_EviT3_lllT4_lllT5_li
; %bb.0:
	s_load_b32 s3, s[0:1], 0x58
	s_bfe_u32 s2, ttmp6, 0x40014
	s_lshr_b32 s4, ttmp7, 16
	s_add_co_i32 s2, s2, 1
	s_bfe_u32 s6, ttmp6, 0x40008
	s_mul_i32 s5, s4, s2
	s_getreg_b32 s2, hwreg(HW_REG_IB_STS2, 6, 4)
	s_add_co_i32 s6, s6, s5
	s_cmp_eq_u32 s2, 0
	s_mov_b32 s17, 0
	s_cselect_b32 s16, s4, s6
	s_wait_kmcnt 0x0
	s_cmp_ge_u32 s16, s3
	s_cbranch_scc1 .LBB87_14
; %bb.1:
	s_clause 0x3
	s_load_b64 s[18:19], s[0:1], 0x18
	s_load_b32 s8, s[0:1], 0x6c
	s_load_b64 s[22:23], s[0:1], 0x38
	s_load_b128 s[4:7], s[0:1], 0x28
	s_bfe_u32 s9, ttmp6, 0x4000c
	s_and_b32 s10, ttmp6, 15
	s_add_co_i32 s9, s9, 1
	v_and_b32_e32 v12, 0x3ff, v0
	s_mul_i32 s9, ttmp9, s9
	v_bfe_u32 v4, v0, 10, 10
	s_add_co_i32 s12, s10, s9
	s_load_b32 s20, s[0:1], 0x0
	s_delay_alu instid0(VALU_DEP_1)
	v_lshlrev_b32_e32 v19, 10, v4
	s_wait_kmcnt 0x0
	s_and_b32 s21, s8, 0xffff
	s_cmp_eq_u32 s2, 0
	s_load_b128 s[8:11], s[0:1], 0x48
	s_cselect_b32 s2, ttmp9, s12
	s_load_b128 s[12:15], s[0:1], 0x8
	v_lshl_add_u32 v6, s2, 6, v12
	v_mov_b32_e32 v5, 0
	s_lshl_b64 s[6:7], s[6:7], 4
	v_mul_u32_u24_e32 v20, s21, v4
	v_cmp_eq_u32_e64 s2, 0, v4
	v_ashrrev_i32_e32 v7, 31, v6
	v_mul_u64_e32 v[0:1], s[18:19], v[4:5]
	v_mul_u64_e32 v[2:3], s[22:23], v[4:5]
	s_wait_xcnt 0x0
	v_cmp_gt_i32_e64 s1, s20, v6
	v_cmp_gt_i32_e32 vcc_lo, s20, v4
	v_mad_nc_u64_u32 v[8:9], v6, s18, v[6:7]
	v_mul_u64_e32 v[10:11], s[22:23], v[6:7]
	v_lshlrev_b64_e32 v[16:17], 4, v[6:7]
	s_wait_kmcnt 0x0
	s_lshl_b64 s[14:15], s[14:15], 4
	s_delay_alu instid0(VALU_DEP_3) | instskip(SKIP_2) | instid1(VALU_DEP_1)
	v_mad_u32 v5, v7, s18, v9
	v_mad_u32_u24 v7, v4, s21, v12
	s_and_b32 s21, s2, s1
	v_cmp_gt_u32_e64 s0, 64, v7
	s_delay_alu instid0(VALU_DEP_3) | instskip(SKIP_4) | instid1(VALU_DEP_3)
	v_mad_u32 v9, v6, s19, v5
	s_lshl_b64 s[18:19], s[18:19], 8
	v_lshl_add_u64 v[0:1], v[0:1], 4, s[14:15]
	v_lshl_add_u64 v[14:15], v[2:3], 4, s[6:7]
	v_lshlrev_b32_e32 v18, 4, v12
	v_add_nc_u64_e32 v[12:13], v[0:1], v[16:17]
	v_add_nc_u64_e32 v[16:17], s[8:9], v[16:17]
	s_delay_alu instid0(VALU_DEP_4) | instskip(NEXT) | instid1(VALU_DEP_4)
	v_or_b32_e32 v14, 8, v14
	v_lshl_add_u32 v5, v20, 4, v18
	s_lshl_b64 s[8:9], s[22:23], 8
	s_delay_alu instid0(VALU_DEP_4)
	v_dual_add_nc_u32 v7, v18, v19 :: v_dual_bitop2_b32 v12, 8, v12 bitop3:0x54
	s_branch .LBB87_3
.LBB87_2:                               ;   in Loop: Header=BB87_3 Depth=1
	s_wait_xcnt 0x0
	s_or_b32 exec_lo, exec_lo, s2
	s_add_co_i32 s16, s16, 0x10000
	s_delay_alu instid0(SALU_CYCLE_1)
	s_cmp_lt_u32 s16, s3
	s_cbranch_scc0 .LBB87_14
.LBB87_3:                               ; =>This Loop Header: Depth=1
                                        ;     Child Loop BB87_8 Depth 2
	v_mov_b32_e32 v0, s16
	v_mov_b64_e32 v[2:3], 0
	s_clause 0x1
	global_load_b64 v[20:21], v0, s[12:13] scale_offset
	global_load_b64 v[18:19], v0, s[4:5] scale_offset
	s_wait_xcnt 0x0
	v_mov_b64_e32 v[0:1], 0
	s_and_saveexec_b32 s2, s21
	s_cbranch_execz .LBB87_5
; %bb.4:                                ;   in Loop: Header=BB87_3 Depth=1
	s_wait_loadcnt 0x0
	v_add_nc_u64_e32 v[0:1], s[6:7], v[18:19]
	v_add_nc_u64_e32 v[2:3], s[14:15], v[20:21]
	s_delay_alu instid0(VALU_DEP_2) | instskip(NEXT) | instid1(VALU_DEP_2)
	v_lshl_add_u64 v[0:1], v[10:11], 4, v[0:1]
	v_lshl_add_u64 v[2:3], v[8:9], 4, v[2:3]
	flat_load_b128 v[22:25], v[0:1]
	flat_load_b128 v[26:29], v[2:3]
	s_wait_loadcnt_dscnt 0x0
	s_wait_xcnt 0x1
	v_mul_f64_e32 v[0:1], v[24:25], v[28:29]
	s_wait_xcnt 0x0
	v_mul_f64_e32 v[2:3], v[22:23], v[28:29]
	s_delay_alu instid0(VALU_DEP_2) | instskip(NEXT) | instid1(VALU_DEP_2)
	v_fma_f64 v[0:1], v[22:23], v[26:27], -v[0:1]
	v_fmac_f64_e32 v[2:3], v[24:25], v[26:27]
.LBB87_5:                               ;   in Loop: Header=BB87_3 Depth=1
	s_or_b32 exec_lo, exec_lo, s2
	s_and_saveexec_b32 s22, vcc_lo
	s_cbranch_execz .LBB87_11
; %bb.6:                                ;   in Loop: Header=BB87_3 Depth=1
	s_wait_loadcnt 0x0
	v_add_nc_u64_e32 v[18:19], v[18:19], v[14:15]
	v_add_nc_u64_e32 v[20:21], v[20:21], v[12:13]
	v_mov_b32_e32 v22, v4
	s_mov_b32 s23, 0
	s_branch .LBB87_8
.LBB87_7:                               ;   in Loop: Header=BB87_8 Depth=2
	s_wait_xcnt 0x0
	s_or_b32 exec_lo, exec_lo, s24
	v_add_nc_u32_e32 v22, 16, v22
	v_add_nc_u64_e32 v[18:19], s[8:9], v[18:19]
	v_add_nc_u64_e32 v[20:21], s[18:19], v[20:21]
	s_delay_alu instid0(VALU_DEP_3) | instskip(SKIP_1) | instid1(SALU_CYCLE_1)
	v_cmp_le_i32_e64 s2, s20, v22
	s_or_b32 s23, s2, s23
	s_and_not1_b32 exec_lo, exec_lo, s23
	s_cbranch_execz .LBB87_10
.LBB87_8:                               ;   Parent Loop BB87_3 Depth=1
                                        ; =>  This Inner Loop Header: Depth=2
	s_mov_b32 s24, exec_lo
	s_delay_alu instid0(VALU_DEP_1)
	v_cmpx_gt_i32_e64 v22, v6
	s_cbranch_execz .LBB87_7
; %bb.9:                                ;   in Loop: Header=BB87_8 Depth=2
	flat_load_b128 v[24:27], v[18:19] offset:-8
	flat_load_b128 v[28:31], v[20:21] offset:-8
	s_wait_loadcnt_dscnt 0x0
	v_mul_f64_e32 v[32:33], v[26:27], v[30:31]
	v_mul_f64_e32 v[30:31], v[24:25], v[30:31]
	s_delay_alu instid0(VALU_DEP_2) | instskip(NEXT) | instid1(VALU_DEP_2)
	v_fma_f64 v[24:25], v[24:25], v[28:29], -v[32:33]
	v_fmac_f64_e32 v[30:31], v[26:27], v[28:29]
	s_delay_alu instid0(VALU_DEP_2) | instskip(NEXT) | instid1(VALU_DEP_2)
	v_add_f64_e32 v[0:1], v[0:1], v[24:25]
	v_add_f64_e32 v[2:3], v[2:3], v[30:31]
	s_branch .LBB87_7
.LBB87_10:                              ;   in Loop: Header=BB87_3 Depth=1
	s_or_b32 exec_lo, exec_lo, s23
.LBB87_11:                              ;   in Loop: Header=BB87_3 Depth=1
	s_delay_alu instid0(SALU_CYCLE_1)
	s_or_b32 exec_lo, exec_lo, s22
	ds_store_b128 v7, v[0:3]
	s_wait_loadcnt_dscnt 0x0
	s_barrier_signal -1
	s_barrier_wait -1
	s_and_saveexec_b32 s2, s0
	s_cbranch_execz .LBB87_2
; %bb.12:                               ;   in Loop: Header=BB87_3 Depth=1
	ds_load_b128 v[0:3], v5
	ds_load_b128 v[18:21], v5 offset:1024
	s_wait_dscnt 0x0
	v_add_f64_e32 v[22:23], v[0:1], v[18:19]
	v_add_f64_e32 v[24:25], v[2:3], v[20:21]
	ds_load_b128 v[0:3], v5 offset:2048
	ds_load_b128 v[18:21], v5 offset:3072
	s_wait_dscnt 0x1
	v_add_f64_e32 v[0:1], v[22:23], v[0:1]
	v_add_f64_e32 v[2:3], v[24:25], v[2:3]
	s_wait_dscnt 0x0
	s_delay_alu instid0(VALU_DEP_2) | instskip(NEXT) | instid1(VALU_DEP_2)
	v_add_f64_e32 v[22:23], v[0:1], v[18:19]
	v_add_f64_e32 v[24:25], v[2:3], v[20:21]
	ds_load_b128 v[0:3], v5 offset:4096
	ds_load_b128 v[18:21], v5 offset:5120
	s_wait_dscnt 0x1
	v_add_f64_e32 v[0:1], v[22:23], v[0:1]
	v_add_f64_e32 v[2:3], v[24:25], v[2:3]
	s_wait_dscnt 0x0
	s_delay_alu instid0(VALU_DEP_2) | instskip(NEXT) | instid1(VALU_DEP_2)
	;; [unrolled: 9-line block ×7, first 2 shown]
	v_add_f64_e32 v[0:1], v[0:1], v[18:19]
	v_add_f64_e32 v[2:3], v[2:3], v[20:21]
	ds_store_b128 v5, v[0:3]
	s_and_b32 exec_lo, exec_lo, s1
	s_cbranch_execz .LBB87_2
; %bb.13:                               ;   in Loop: Header=BB87_3 Depth=1
	ds_load_2addr_b64 v[0:3], v5 offset1:1
	s_mul_u64 s[22:23], s[10:11], s[16:17]
	s_delay_alu instid0(SALU_CYCLE_1)
	v_lshl_add_u64 v[18:19], s[22:23], 4, v[16:17]
	s_wait_dscnt 0x0
	global_store_b128 v[18:19], v[0:3], off
	s_branch .LBB87_2
.LBB87_14:
	s_endpgm
	.section	.rodata,"a",@progbits
	.p2align	6, 0x0
	.amdhsa_kernel _ZL20rocblas_trmvn_kernelILi64ELi16ELb0ELb0EPKPK19rocblas_complex_numIdEPKPS1_S6_EviT3_lllT4_lllT5_li
		.amdhsa_group_segment_fixed_size 16384
		.amdhsa_private_segment_fixed_size 0
		.amdhsa_kernarg_size 352
		.amdhsa_user_sgpr_count 2
		.amdhsa_user_sgpr_dispatch_ptr 0
		.amdhsa_user_sgpr_queue_ptr 0
		.amdhsa_user_sgpr_kernarg_segment_ptr 1
		.amdhsa_user_sgpr_dispatch_id 0
		.amdhsa_user_sgpr_kernarg_preload_length 0
		.amdhsa_user_sgpr_kernarg_preload_offset 0
		.amdhsa_user_sgpr_private_segment_size 0
		.amdhsa_wavefront_size32 1
		.amdhsa_uses_dynamic_stack 0
		.amdhsa_enable_private_segment 0
		.amdhsa_system_sgpr_workgroup_id_x 1
		.amdhsa_system_sgpr_workgroup_id_y 0
		.amdhsa_system_sgpr_workgroup_id_z 1
		.amdhsa_system_sgpr_workgroup_info 0
		.amdhsa_system_vgpr_workitem_id 1
		.amdhsa_next_free_vgpr 34
		.amdhsa_next_free_sgpr 25
		.amdhsa_named_barrier_count 0
		.amdhsa_reserve_vcc 1
		.amdhsa_float_round_mode_32 0
		.amdhsa_float_round_mode_16_64 0
		.amdhsa_float_denorm_mode_32 3
		.amdhsa_float_denorm_mode_16_64 3
		.amdhsa_fp16_overflow 0
		.amdhsa_memory_ordered 1
		.amdhsa_forward_progress 1
		.amdhsa_inst_pref_size 10
		.amdhsa_round_robin_scheduling 0
		.amdhsa_exception_fp_ieee_invalid_op 0
		.amdhsa_exception_fp_denorm_src 0
		.amdhsa_exception_fp_ieee_div_zero 0
		.amdhsa_exception_fp_ieee_overflow 0
		.amdhsa_exception_fp_ieee_underflow 0
		.amdhsa_exception_fp_ieee_inexact 0
		.amdhsa_exception_int_div_zero 0
	.end_amdhsa_kernel
	.section	.text._ZL20rocblas_trmvn_kernelILi64ELi16ELb0ELb0EPKPK19rocblas_complex_numIdEPKPS1_S6_EviT3_lllT4_lllT5_li,"axG",@progbits,_ZL20rocblas_trmvn_kernelILi64ELi16ELb0ELb0EPKPK19rocblas_complex_numIdEPKPS1_S6_EviT3_lllT4_lllT5_li,comdat
.Lfunc_end87:
	.size	_ZL20rocblas_trmvn_kernelILi64ELi16ELb0ELb0EPKPK19rocblas_complex_numIdEPKPS1_S6_EviT3_lllT4_lllT5_li, .Lfunc_end87-_ZL20rocblas_trmvn_kernelILi64ELi16ELb0ELb0EPKPK19rocblas_complex_numIdEPKPS1_S6_EviT3_lllT4_lllT5_li
                                        ; -- End function
	.set _ZL20rocblas_trmvn_kernelILi64ELi16ELb0ELb0EPKPK19rocblas_complex_numIdEPKPS1_S6_EviT3_lllT4_lllT5_li.num_vgpr, 34
	.set _ZL20rocblas_trmvn_kernelILi64ELi16ELb0ELb0EPKPK19rocblas_complex_numIdEPKPS1_S6_EviT3_lllT4_lllT5_li.num_agpr, 0
	.set _ZL20rocblas_trmvn_kernelILi64ELi16ELb0ELb0EPKPK19rocblas_complex_numIdEPKPS1_S6_EviT3_lllT4_lllT5_li.numbered_sgpr, 25
	.set _ZL20rocblas_trmvn_kernelILi64ELi16ELb0ELb0EPKPK19rocblas_complex_numIdEPKPS1_S6_EviT3_lllT4_lllT5_li.num_named_barrier, 0
	.set _ZL20rocblas_trmvn_kernelILi64ELi16ELb0ELb0EPKPK19rocblas_complex_numIdEPKPS1_S6_EviT3_lllT4_lllT5_li.private_seg_size, 0
	.set _ZL20rocblas_trmvn_kernelILi64ELi16ELb0ELb0EPKPK19rocblas_complex_numIdEPKPS1_S6_EviT3_lllT4_lllT5_li.uses_vcc, 1
	.set _ZL20rocblas_trmvn_kernelILi64ELi16ELb0ELb0EPKPK19rocblas_complex_numIdEPKPS1_S6_EviT3_lllT4_lllT5_li.uses_flat_scratch, 0
	.set _ZL20rocblas_trmvn_kernelILi64ELi16ELb0ELb0EPKPK19rocblas_complex_numIdEPKPS1_S6_EviT3_lllT4_lllT5_li.has_dyn_sized_stack, 0
	.set _ZL20rocblas_trmvn_kernelILi64ELi16ELb0ELb0EPKPK19rocblas_complex_numIdEPKPS1_S6_EviT3_lllT4_lllT5_li.has_recursion, 0
	.set _ZL20rocblas_trmvn_kernelILi64ELi16ELb0ELb0EPKPK19rocblas_complex_numIdEPKPS1_S6_EviT3_lllT4_lllT5_li.has_indirect_call, 0
	.section	.AMDGPU.csdata,"",@progbits
; Kernel info:
; codeLenInByte = 1172
; TotalNumSgprs: 27
; NumVgprs: 34
; ScratchSize: 0
; MemoryBound: 0
; FloatMode: 240
; IeeeMode: 1
; LDSByteSize: 16384 bytes/workgroup (compile time only)
; SGPRBlocks: 0
; VGPRBlocks: 2
; NumSGPRsForWavesPerEU: 27
; NumVGPRsForWavesPerEU: 34
; NamedBarCnt: 0
; Occupancy: 16
; WaveLimiterHint : 1
; COMPUTE_PGM_RSRC2:SCRATCH_EN: 0
; COMPUTE_PGM_RSRC2:USER_SGPR: 2
; COMPUTE_PGM_RSRC2:TRAP_HANDLER: 0
; COMPUTE_PGM_RSRC2:TGID_X_EN: 1
; COMPUTE_PGM_RSRC2:TGID_Y_EN: 0
; COMPUTE_PGM_RSRC2:TGID_Z_EN: 1
; COMPUTE_PGM_RSRC2:TIDIG_COMP_CNT: 1
	.section	.text._ZL20rocblas_trmvt_kernelILi512ELb0ELb0ELb0EPKPK19rocblas_complex_numIdEPKPS1_S6_EviT3_lllT4_lllT5_li,"axG",@progbits,_ZL20rocblas_trmvt_kernelILi512ELb0ELb0ELb0EPKPK19rocblas_complex_numIdEPKPS1_S6_EviT3_lllT4_lllT5_li,comdat
	.globl	_ZL20rocblas_trmvt_kernelILi512ELb0ELb0ELb0EPKPK19rocblas_complex_numIdEPKPS1_S6_EviT3_lllT4_lllT5_li ; -- Begin function _ZL20rocblas_trmvt_kernelILi512ELb0ELb0ELb0EPKPK19rocblas_complex_numIdEPKPS1_S6_EviT3_lllT4_lllT5_li
	.p2align	8
	.type	_ZL20rocblas_trmvt_kernelILi512ELb0ELb0ELb0EPKPK19rocblas_complex_numIdEPKPS1_S6_EviT3_lllT4_lllT5_li,@function
_ZL20rocblas_trmvt_kernelILi512ELb0ELb0ELb0EPKPK19rocblas_complex_numIdEPKPS1_S6_EviT3_lllT4_lllT5_li: ; @_ZL20rocblas_trmvt_kernelILi512ELb0ELb0ELb0EPKPK19rocblas_complex_numIdEPKPS1_S6_EviT3_lllT4_lllT5_li
; %bb.0:
	s_load_b32 s28, s[0:1], 0x58
	s_bfe_u32 s2, ttmp6, 0x40014
	s_lshr_b32 s4, ttmp7, 16
	s_add_co_i32 s2, s2, 1
	s_bfe_u32 s5, ttmp6, 0x40008
	s_mul_i32 s2, s4, s2
	s_getreg_b32 s3, hwreg(HW_REG_IB_STS2, 6, 4)
	s_add_co_i32 s5, s5, s2
	s_cmp_eq_u32 s3, 0
	s_mov_b32 s17, 0
	s_cselect_b32 s16, s4, s5
	s_wait_kmcnt 0x0
	s_cmp_ge_u32 s16, s28
	s_cbranch_scc1 .LBB88_21
; %bb.1:
	s_clause 0x5
	s_load_b64 s[24:25], s[0:1], 0x38
	s_load_b32 s29, s[0:1], 0x0
	s_load_b128 s[8:11], s[0:1], 0x8
	s_load_b64 s[20:21], s[0:1], 0x18
	s_load_b128 s[12:15], s[0:1], 0x28
	s_load_b128 s[4:7], s[0:1], 0x48
	v_dual_mov_b32 v7, 0 :: v_dual_bitop2_b32 v4, 31, v0 bitop3:0x40
	v_mbcnt_lo_u32_b32 v5, -1, 0
	s_wait_xcnt 0x0
	s_bfe_u32 s1, ttmp6, 0x4000c
	s_delay_alu instid0(VALU_DEP_2)
	v_dual_mov_b32 v1, v7 :: v_dual_lshrrev_b32 v6, 1, v0
	s_add_co_i32 s2, s1, 1
	s_and_b32 s18, ttmp6, 15
	s_mul_i32 s19, ttmp9, s2
	v_cmp_gt_u32_e64 s2, 24, v5
	s_add_co_i32 s18, s18, s19
	s_cmp_eq_u32 s3, 0
	v_and_b32_e32 v17, 0xf0, v6
	s_cselect_b32 s18, ttmp9, s18
	s_wait_kmcnt 0x0
	v_mul_u64_e32 v[2:3], s[24:25], v[0:1]
	v_cndmask_b32_e64 v8, 0, 8, s2
	v_cmp_gt_u32_e64 s2, 28, v5
	v_cmp_gt_i32_e64 s3, s29, v0
	s_lshl_b64 s[14:15], s[14:15], 4
	v_lshlrev_b32_e32 v1, 4, v4
	s_ashr_i32 s19, s18, 31
	v_cndmask_b32_e64 v9, 0, 4, s2
	v_cmp_gt_u32_e64 s2, 30, v5
	s_mul_u64 s[20:21], s[20:21], s[18:19]
	s_lshl_b64 s[10:11], s[10:11], 4
	s_lshl_b64 s[22:23], s[20:21], 4
	v_add_lshl_u32 v18, v8, v5, 2
	v_cndmask_b32_e64 v10, 0, 2, s2
	v_cmp_ne_u32_e64 s2, 31, v5
	s_add_nc_u64 s[22:23], s[22:23], s[10:11]
	v_add_lshl_u32 v19, v9, v5, 2
	v_cmp_gt_u32_e64 s0, 32, v0
	v_add_lshl_u32 v20, v10, v5, 2
	v_add_co_ci_u32_e64 v12, null, 0, v5, s2
	v_cmp_eq_u32_e64 s2, 0, v4
	v_cmp_gt_u32_e64 s1, 16, v0
	v_lshl_or_b32 v16, v5, 2, 64
	s_delay_alu instid0(VALU_DEP_4)
	v_lshlrev_b32_e32 v21, 2, v12
	s_mul_u64 s[26:27], s[24:25], s[18:19]
	s_lshl_b64 s[24:25], s[24:25], 13
	s_lshl_b64 s[26:27], s[26:27], 4
	v_cmp_eq_u32_e32 vcc_lo, 0, v0
	v_lshl_add_u64 v[10:11], v[2:3], 4, s[14:15]
	s_delay_alu instid0(VALU_DEP_1) | instskip(NEXT) | instid1(VALU_DEP_1)
	v_dual_cndmask_b32 v4, 0, v0, s3 :: v_dual_bitop2_b32 v10, 8, v10 bitop3:0x54
	v_lshlrev_b32_e32 v6, 4, v4
	s_delay_alu instid0(VALU_DEP_1) | instskip(SKIP_2) | instid1(SALU_CYCLE_1)
	v_add_nc_u64_e32 v[8:9], s[22:23], v[6:7]
	v_lshlrev_b32_e32 v6, 4, v4
	s_lshl_b64 s[22:23], s[18:19], 4
	s_add_nc_u64 s[22:23], s[4:5], s[22:23]
	s_delay_alu instid0(VALU_DEP_2)
	v_or_b32_e32 v8, 8, v8
	s_branch .LBB88_3
.LBB88_2:                               ;   in Loop: Header=BB88_3 Depth=1
	s_wait_xcnt 0x0
	s_or_b32 exec_lo, exec_lo, s4
	s_add_co_i32 s16, s16, 0x10000
	s_delay_alu instid0(SALU_CYCLE_1)
	s_cmp_lt_u32 s16, s28
	s_cbranch_scc0 .LBB88_21
.LBB88_3:                               ; =>This Loop Header: Depth=1
                                        ;     Child Loop BB88_15 Depth 2
	s_wait_dscnt 0x0
	v_mov_b32_e32 v2, s16
	v_mov_b64_e32 v[4:5], 0
	s_clause 0x1
	global_load_b64 v[14:15], v2, s[8:9] scale_offset
	global_load_b64 v[12:13], v2, s[12:13] scale_offset
	s_wait_xcnt 0x0
	v_mov_b64_e32 v[2:3], 0
	s_and_saveexec_b32 s4, vcc_lo
	s_cbranch_execnz .LBB88_12
; %bb.4:                                ;   in Loop: Header=BB88_3 Depth=1
	s_or_b32 exec_lo, exec_lo, s4
	s_and_saveexec_b32 s5, s3
	s_cbranch_execnz .LBB88_13
.LBB88_5:                               ;   in Loop: Header=BB88_3 Depth=1
	s_or_b32 exec_lo, exec_lo, s5
	s_and_saveexec_b32 s4, s0
	s_cbranch_execz .LBB88_7
.LBB88_6:                               ;   in Loop: Header=BB88_3 Depth=1
	s_wait_loadcnt 0x0
	v_dual_mov_b32 v12, v7 :: v_dual_mov_b32 v13, v7
	v_dual_mov_b32 v14, v7 :: v_dual_mov_b32 v15, v7
	ds_store_b128 v1, v[12:15]
.LBB88_7:                               ;   in Loop: Header=BB88_3 Depth=1
	s_or_b32 exec_lo, exec_lo, s4
	s_wait_loadcnt 0x0
	ds_bpermute_b32 v12, v16, v4
	ds_bpermute_b32 v13, v16, v5
	;; [unrolled: 1-line block ×4, first 2 shown]
	s_wait_dscnt 0x0
	s_barrier_signal -1
	s_barrier_wait -1
	v_add_f64_e32 v[4:5], v[4:5], v[12:13]
	v_add_f64_e32 v[2:3], v[2:3], v[14:15]
	ds_bpermute_b32 v12, v18, v4
	ds_bpermute_b32 v13, v18, v5
	ds_bpermute_b32 v14, v18, v2
	ds_bpermute_b32 v15, v18, v3
	s_wait_dscnt 0x2
	v_add_f64_e32 v[4:5], v[4:5], v[12:13]
	s_wait_dscnt 0x0
	v_add_f64_e32 v[2:3], v[2:3], v[14:15]
	ds_bpermute_b32 v12, v19, v4
	ds_bpermute_b32 v13, v19, v5
	ds_bpermute_b32 v14, v19, v2
	ds_bpermute_b32 v15, v19, v3
	s_wait_dscnt 0x2
	v_add_f64_e32 v[4:5], v[4:5], v[12:13]
	s_wait_dscnt 0x0
	;; [unrolled: 8-line block ×3, first 2 shown]
	v_add_f64_e32 v[12:13], v[12:13], v[14:15]
	ds_bpermute_b32 v4, v21, v2
	ds_bpermute_b32 v5, v21, v3
	;; [unrolled: 1-line block ×4, first 2 shown]
	s_and_saveexec_b32 s4, s2
	s_cbranch_execz .LBB88_9
; %bb.8:                                ;   in Loop: Header=BB88_3 Depth=1
	s_wait_dscnt 0x0
	v_add_f64_e32 v[14:15], v[12:13], v[14:15]
	v_add_f64_e32 v[12:13], v[2:3], v[4:5]
	ds_store_b128 v17, v[12:15]
.LBB88_9:                               ;   in Loop: Header=BB88_3 Depth=1
	s_or_b32 exec_lo, exec_lo, s4
	s_wait_dscnt 0x2
	v_mov_b64_e32 v[4:5], 0
	v_mov_b64_e32 v[2:3], 0
	s_wait_dscnt 0x0
	s_barrier_signal -1
	s_barrier_wait -1
	s_and_saveexec_b32 s4, s1
	s_cbranch_execnz .LBB88_17
; %bb.10:                               ;   in Loop: Header=BB88_3 Depth=1
	s_or_b32 exec_lo, exec_lo, s4
	s_and_saveexec_b32 s4, s0
	s_cbranch_execnz .LBB88_18
.LBB88_11:                              ;   in Loop: Header=BB88_3 Depth=1
	s_or_b32 exec_lo, exec_lo, s4
	s_and_saveexec_b32 s4, vcc_lo
	s_cbranch_execz .LBB88_2
	s_branch .LBB88_19
.LBB88_12:                              ;   in Loop: Header=BB88_3 Depth=1
	s_wait_loadcnt 0x1
	v_add_nc_u64_e32 v[2:3], s[10:11], v[14:15]
	s_wait_loadcnt 0x0
	v_add_nc_u64_e32 v[4:5], s[14:15], v[12:13]
	s_delay_alu instid0(VALU_DEP_2) | instskip(NEXT) | instid1(VALU_DEP_2)
	v_add_nc_u64_e32 v[2:3], v[2:3], v[6:7]
	v_add_nc_u64_e32 v[26:27], s[26:27], v[4:5]
	s_delay_alu instid0(VALU_DEP_2) | instskip(NEXT) | instid1(VALU_DEP_1)
	v_lshl_add_u64 v[2:3], s[20:21], 4, v[2:3]
	v_lshl_add_u64 v[28:29], s[18:19], 4, v[2:3]
	flat_load_b128 v[2:5], v[26:27]
	flat_load_b128 v[22:25], v[28:29]
	s_wait_loadcnt_dscnt 0x0
	s_wait_xcnt 0x1
	v_mul_f64_e32 v[26:27], v[24:25], v[4:5]
	s_wait_xcnt 0x0
	v_mul_f64_e32 v[28:29], v[22:23], v[4:5]
	s_delay_alu instid0(VALU_DEP_2) | instskip(NEXT) | instid1(VALU_DEP_2)
	v_fma_f64 v[4:5], v[22:23], v[2:3], -v[26:27]
	v_fmac_f64_e32 v[28:29], v[24:25], v[2:3]
	s_delay_alu instid0(VALU_DEP_2) | instskip(NEXT) | instid1(VALU_DEP_2)
	v_add_f64_e32 v[4:5], 0, v[4:5]
	v_add_f64_e32 v[2:3], 0, v[28:29]
	s_or_b32 exec_lo, exec_lo, s4
	s_and_saveexec_b32 s5, s3
	s_cbranch_execz .LBB88_5
.LBB88_13:                              ;   in Loop: Header=BB88_3 Depth=1
	s_wait_loadcnt 0x0
	v_add_nc_u64_e32 v[12:13], v[12:13], v[10:11]
	v_add_nc_u64_e32 v[14:15], v[14:15], v[8:9]
	v_mov_b32_e32 v22, v0
	s_mov_b32 s30, 0
	s_branch .LBB88_15
.LBB88_14:                              ;   in Loop: Header=BB88_15 Depth=2
	s_wait_xcnt 0x0
	s_or_b32 exec_lo, exec_lo, s31
	v_add_nc_u32_e32 v22, 0x200, v22
	v_add_nc_u64_e32 v[12:13], s[24:25], v[12:13]
	v_add_nc_u64_e32 v[14:15], 0x2000, v[14:15]
	s_delay_alu instid0(VALU_DEP_3) | instskip(SKIP_1) | instid1(SALU_CYCLE_1)
	v_cmp_le_i32_e64 s4, s29, v22
	s_or_b32 s30, s4, s30
	s_and_not1_b32 exec_lo, exec_lo, s30
	s_cbranch_execz .LBB88_20
.LBB88_15:                              ;   Parent Loop BB88_3 Depth=1
                                        ; =>  This Inner Loop Header: Depth=2
	s_mov_b32 s31, exec_lo
	s_delay_alu instid0(VALU_DEP_1)
	v_cmpx_gt_i32_e64 s18, v22
	s_cbranch_execz .LBB88_14
; %bb.16:                               ;   in Loop: Header=BB88_15 Depth=2
	flat_load_b128 v[24:27], v[14:15] offset:-8
	flat_load_b128 v[28:31], v[12:13] offset:-8
	s_wait_loadcnt_dscnt 0x0
	v_mul_f64_e32 v[32:33], v[26:27], v[30:31]
	v_mul_f64_e32 v[30:31], v[24:25], v[30:31]
	s_delay_alu instid0(VALU_DEP_2) | instskip(NEXT) | instid1(VALU_DEP_2)
	v_fma_f64 v[24:25], v[24:25], v[28:29], -v[32:33]
	v_fmac_f64_e32 v[30:31], v[26:27], v[28:29]
	s_delay_alu instid0(VALU_DEP_2) | instskip(NEXT) | instid1(VALU_DEP_2)
	v_add_f64_e32 v[4:5], v[4:5], v[24:25]
	v_add_f64_e32 v[2:3], v[2:3], v[30:31]
	s_branch .LBB88_14
.LBB88_17:                              ;   in Loop: Header=BB88_3 Depth=1
	ds_load_b128 v[2:5], v1
	s_or_b32 exec_lo, exec_lo, s4
	s_and_saveexec_b32 s4, s0
	s_cbranch_execz .LBB88_11
.LBB88_18:                              ;   in Loop: Header=BB88_3 Depth=1
	s_wait_dscnt 0x0
	ds_bpermute_b32 v12, v18, v2
	ds_bpermute_b32 v13, v18, v3
	ds_bpermute_b32 v14, v18, v4
	ds_bpermute_b32 v15, v18, v5
	s_wait_dscnt 0x2
	v_add_f64_e32 v[2:3], v[2:3], v[12:13]
	s_wait_dscnt 0x0
	v_add_f64_e32 v[4:5], v[4:5], v[14:15]
	ds_bpermute_b32 v12, v19, v2
	ds_bpermute_b32 v13, v19, v3
	ds_bpermute_b32 v14, v19, v4
	ds_bpermute_b32 v15, v19, v5
	s_wait_dscnt 0x2
	v_add_f64_e32 v[2:3], v[2:3], v[12:13]
	s_wait_dscnt 0x0
	v_add_f64_e32 v[4:5], v[4:5], v[14:15]
	;; [unrolled: 8-line block ×4, first 2 shown]
	s_or_b32 exec_lo, exec_lo, s4
	s_and_saveexec_b32 s4, vcc_lo
	s_cbranch_execz .LBB88_2
.LBB88_19:                              ;   in Loop: Header=BB88_3 Depth=1
	s_mul_u64 s[30:31], s[6:7], s[16:17]
	s_delay_alu instid0(SALU_CYCLE_1) | instskip(NEXT) | instid1(SALU_CYCLE_1)
	s_lshl_b64 s[30:31], s[30:31], 4
	s_add_nc_u64 s[30:31], s[22:23], s[30:31]
	s_wait_dscnt 0x0
	global_store_b128 v7, v[2:5], s[30:31]
	s_branch .LBB88_2
.LBB88_20:                              ;   in Loop: Header=BB88_3 Depth=1
	s_or_b32 exec_lo, exec_lo, s30
	s_delay_alu instid0(SALU_CYCLE_1)
	s_or_b32 exec_lo, exec_lo, s5
	s_and_saveexec_b32 s4, s0
	s_cbranch_execnz .LBB88_6
	s_branch .LBB88_7
.LBB88_21:
	s_endpgm
	.section	.rodata,"a",@progbits
	.p2align	6, 0x0
	.amdhsa_kernel _ZL20rocblas_trmvt_kernelILi512ELb0ELb0ELb0EPKPK19rocblas_complex_numIdEPKPS1_S6_EviT3_lllT4_lllT5_li
		.amdhsa_group_segment_fixed_size 512
		.amdhsa_private_segment_fixed_size 0
		.amdhsa_kernarg_size 92
		.amdhsa_user_sgpr_count 2
		.amdhsa_user_sgpr_dispatch_ptr 0
		.amdhsa_user_sgpr_queue_ptr 0
		.amdhsa_user_sgpr_kernarg_segment_ptr 1
		.amdhsa_user_sgpr_dispatch_id 0
		.amdhsa_user_sgpr_kernarg_preload_length 0
		.amdhsa_user_sgpr_kernarg_preload_offset 0
		.amdhsa_user_sgpr_private_segment_size 0
		.amdhsa_wavefront_size32 1
		.amdhsa_uses_dynamic_stack 0
		.amdhsa_enable_private_segment 0
		.amdhsa_system_sgpr_workgroup_id_x 1
		.amdhsa_system_sgpr_workgroup_id_y 0
		.amdhsa_system_sgpr_workgroup_id_z 1
		.amdhsa_system_sgpr_workgroup_info 0
		.amdhsa_system_vgpr_workitem_id 0
		.amdhsa_next_free_vgpr 34
		.amdhsa_next_free_sgpr 32
		.amdhsa_named_barrier_count 0
		.amdhsa_reserve_vcc 1
		.amdhsa_float_round_mode_32 0
		.amdhsa_float_round_mode_16_64 0
		.amdhsa_float_denorm_mode_32 3
		.amdhsa_float_denorm_mode_16_64 3
		.amdhsa_fp16_overflow 0
		.amdhsa_memory_ordered 1
		.amdhsa_forward_progress 1
		.amdhsa_inst_pref_size 12
		.amdhsa_round_robin_scheduling 0
		.amdhsa_exception_fp_ieee_invalid_op 0
		.amdhsa_exception_fp_denorm_src 0
		.amdhsa_exception_fp_ieee_div_zero 0
		.amdhsa_exception_fp_ieee_overflow 0
		.amdhsa_exception_fp_ieee_underflow 0
		.amdhsa_exception_fp_ieee_inexact 0
		.amdhsa_exception_int_div_zero 0
	.end_amdhsa_kernel
	.section	.text._ZL20rocblas_trmvt_kernelILi512ELb0ELb0ELb0EPKPK19rocblas_complex_numIdEPKPS1_S6_EviT3_lllT4_lllT5_li,"axG",@progbits,_ZL20rocblas_trmvt_kernelILi512ELb0ELb0ELb0EPKPK19rocblas_complex_numIdEPKPS1_S6_EviT3_lllT4_lllT5_li,comdat
.Lfunc_end88:
	.size	_ZL20rocblas_trmvt_kernelILi512ELb0ELb0ELb0EPKPK19rocblas_complex_numIdEPKPS1_S6_EviT3_lllT4_lllT5_li, .Lfunc_end88-_ZL20rocblas_trmvt_kernelILi512ELb0ELb0ELb0EPKPK19rocblas_complex_numIdEPKPS1_S6_EviT3_lllT4_lllT5_li
                                        ; -- End function
	.set _ZL20rocblas_trmvt_kernelILi512ELb0ELb0ELb0EPKPK19rocblas_complex_numIdEPKPS1_S6_EviT3_lllT4_lllT5_li.num_vgpr, 34
	.set _ZL20rocblas_trmvt_kernelILi512ELb0ELb0ELb0EPKPK19rocblas_complex_numIdEPKPS1_S6_EviT3_lllT4_lllT5_li.num_agpr, 0
	.set _ZL20rocblas_trmvt_kernelILi512ELb0ELb0ELb0EPKPK19rocblas_complex_numIdEPKPS1_S6_EviT3_lllT4_lllT5_li.numbered_sgpr, 32
	.set _ZL20rocblas_trmvt_kernelILi512ELb0ELb0ELb0EPKPK19rocblas_complex_numIdEPKPS1_S6_EviT3_lllT4_lllT5_li.num_named_barrier, 0
	.set _ZL20rocblas_trmvt_kernelILi512ELb0ELb0ELb0EPKPK19rocblas_complex_numIdEPKPS1_S6_EviT3_lllT4_lllT5_li.private_seg_size, 0
	.set _ZL20rocblas_trmvt_kernelILi512ELb0ELb0ELb0EPKPK19rocblas_complex_numIdEPKPS1_S6_EviT3_lllT4_lllT5_li.uses_vcc, 1
	.set _ZL20rocblas_trmvt_kernelILi512ELb0ELb0ELb0EPKPK19rocblas_complex_numIdEPKPS1_S6_EviT3_lllT4_lllT5_li.uses_flat_scratch, 0
	.set _ZL20rocblas_trmvt_kernelILi512ELb0ELb0ELb0EPKPK19rocblas_complex_numIdEPKPS1_S6_EviT3_lllT4_lllT5_li.has_dyn_sized_stack, 0
	.set _ZL20rocblas_trmvt_kernelILi512ELb0ELb0ELb0EPKPK19rocblas_complex_numIdEPKPS1_S6_EviT3_lllT4_lllT5_li.has_recursion, 0
	.set _ZL20rocblas_trmvt_kernelILi512ELb0ELb0ELb0EPKPK19rocblas_complex_numIdEPKPS1_S6_EviT3_lllT4_lllT5_li.has_indirect_call, 0
	.section	.AMDGPU.csdata,"",@progbits
; Kernel info:
; codeLenInByte = 1496
; TotalNumSgprs: 34
; NumVgprs: 34
; ScratchSize: 0
; MemoryBound: 0
; FloatMode: 240
; IeeeMode: 1
; LDSByteSize: 512 bytes/workgroup (compile time only)
; SGPRBlocks: 0
; VGPRBlocks: 2
; NumSGPRsForWavesPerEU: 34
; NumVGPRsForWavesPerEU: 34
; NamedBarCnt: 0
; Occupancy: 16
; WaveLimiterHint : 1
; COMPUTE_PGM_RSRC2:SCRATCH_EN: 0
; COMPUTE_PGM_RSRC2:USER_SGPR: 2
; COMPUTE_PGM_RSRC2:TRAP_HANDLER: 0
; COMPUTE_PGM_RSRC2:TGID_X_EN: 1
; COMPUTE_PGM_RSRC2:TGID_Y_EN: 0
; COMPUTE_PGM_RSRC2:TGID_Z_EN: 1
; COMPUTE_PGM_RSRC2:TIDIG_COMP_CNT: 0
	.section	.text._ZL20rocblas_trmvt_kernelILi512ELb0ELb1ELb0EPKPK19rocblas_complex_numIdEPKPS1_S6_EviT3_lllT4_lllT5_li,"axG",@progbits,_ZL20rocblas_trmvt_kernelILi512ELb0ELb1ELb0EPKPK19rocblas_complex_numIdEPKPS1_S6_EviT3_lllT4_lllT5_li,comdat
	.globl	_ZL20rocblas_trmvt_kernelILi512ELb0ELb1ELb0EPKPK19rocblas_complex_numIdEPKPS1_S6_EviT3_lllT4_lllT5_li ; -- Begin function _ZL20rocblas_trmvt_kernelILi512ELb0ELb1ELb0EPKPK19rocblas_complex_numIdEPKPS1_S6_EviT3_lllT4_lllT5_li
	.p2align	8
	.type	_ZL20rocblas_trmvt_kernelILi512ELb0ELb1ELb0EPKPK19rocblas_complex_numIdEPKPS1_S6_EviT3_lllT4_lllT5_li,@function
_ZL20rocblas_trmvt_kernelILi512ELb0ELb1ELb0EPKPK19rocblas_complex_numIdEPKPS1_S6_EviT3_lllT4_lllT5_li: ; @_ZL20rocblas_trmvt_kernelILi512ELb0ELb1ELb0EPKPK19rocblas_complex_numIdEPKPS1_S6_EviT3_lllT4_lllT5_li
; %bb.0:
	s_load_b32 s28, s[0:1], 0x58
	s_bfe_u32 s2, ttmp6, 0x40014
	s_lshr_b32 s4, ttmp7, 16
	s_add_co_i32 s2, s2, 1
	s_bfe_u32 s5, ttmp6, 0x40008
	s_mul_i32 s2, s4, s2
	s_getreg_b32 s3, hwreg(HW_REG_IB_STS2, 6, 4)
	s_add_co_i32 s5, s5, s2
	s_cmp_eq_u32 s3, 0
	s_mov_b32 s17, 0
	s_cselect_b32 s16, s4, s5
	s_wait_kmcnt 0x0
	s_cmp_ge_u32 s16, s28
	s_cbranch_scc1 .LBB89_21
; %bb.1:
	s_clause 0x5
	s_load_b64 s[24:25], s[0:1], 0x38
	s_load_b32 s29, s[0:1], 0x0
	s_load_b128 s[8:11], s[0:1], 0x8
	s_load_b64 s[20:21], s[0:1], 0x18
	s_load_b128 s[12:15], s[0:1], 0x28
	s_load_b128 s[4:7], s[0:1], 0x48
	v_dual_mov_b32 v7, 0 :: v_dual_bitop2_b32 v4, 31, v0 bitop3:0x40
	v_mbcnt_lo_u32_b32 v5, -1, 0
	s_wait_xcnt 0x0
	s_bfe_u32 s1, ttmp6, 0x4000c
	s_delay_alu instid0(VALU_DEP_2)
	v_dual_mov_b32 v1, v7 :: v_dual_lshrrev_b32 v6, 1, v0
	s_add_co_i32 s2, s1, 1
	s_and_b32 s18, ttmp6, 15
	s_mul_i32 s19, ttmp9, s2
	v_cmp_gt_u32_e64 s2, 24, v5
	s_add_co_i32 s18, s18, s19
	s_cmp_eq_u32 s3, 0
	v_and_b32_e32 v17, 0xf0, v6
	s_cselect_b32 s18, ttmp9, s18
	s_wait_kmcnt 0x0
	v_mul_u64_e32 v[2:3], s[24:25], v[0:1]
	v_cndmask_b32_e64 v8, 0, 8, s2
	v_cmp_gt_u32_e64 s2, 28, v5
	v_cmp_gt_i32_e64 s3, s29, v0
	s_lshl_b64 s[14:15], s[14:15], 4
	v_lshlrev_b32_e32 v1, 4, v4
	s_ashr_i32 s19, s18, 31
	v_cndmask_b32_e64 v9, 0, 4, s2
	v_cmp_gt_u32_e64 s2, 30, v5
	s_mul_u64 s[20:21], s[20:21], s[18:19]
	s_lshl_b64 s[10:11], s[10:11], 4
	s_lshl_b64 s[22:23], s[20:21], 4
	v_add_lshl_u32 v18, v8, v5, 2
	v_cndmask_b32_e64 v10, 0, 2, s2
	v_cmp_ne_u32_e64 s2, 31, v5
	s_add_nc_u64 s[22:23], s[22:23], s[10:11]
	v_add_lshl_u32 v19, v9, v5, 2
	v_cmp_gt_u32_e64 s0, 32, v0
	v_add_lshl_u32 v20, v10, v5, 2
	v_add_co_ci_u32_e64 v12, null, 0, v5, s2
	v_cmp_eq_u32_e64 s2, 0, v4
	v_cmp_gt_u32_e64 s1, 16, v0
	v_lshl_or_b32 v16, v5, 2, 64
	s_delay_alu instid0(VALU_DEP_4)
	v_lshlrev_b32_e32 v21, 2, v12
	s_mul_u64 s[26:27], s[24:25], s[18:19]
	s_lshl_b64 s[24:25], s[24:25], 13
	s_lshl_b64 s[26:27], s[26:27], 4
	v_cmp_eq_u32_e32 vcc_lo, 0, v0
	v_lshl_add_u64 v[10:11], v[2:3], 4, s[14:15]
	s_delay_alu instid0(VALU_DEP_1) | instskip(NEXT) | instid1(VALU_DEP_1)
	v_dual_cndmask_b32 v4, 0, v0, s3 :: v_dual_bitop2_b32 v10, 8, v10 bitop3:0x54
	v_lshlrev_b32_e32 v6, 4, v4
	s_delay_alu instid0(VALU_DEP_1) | instskip(SKIP_2) | instid1(SALU_CYCLE_1)
	v_add_nc_u64_e32 v[8:9], s[22:23], v[6:7]
	v_lshlrev_b32_e32 v6, 4, v4
	s_lshl_b64 s[22:23], s[18:19], 4
	s_add_nc_u64 s[22:23], s[4:5], s[22:23]
	s_delay_alu instid0(VALU_DEP_2)
	v_or_b32_e32 v8, 8, v8
	s_branch .LBB89_3
.LBB89_2:                               ;   in Loop: Header=BB89_3 Depth=1
	s_wait_xcnt 0x0
	s_or_b32 exec_lo, exec_lo, s4
	s_add_co_i32 s16, s16, 0x10000
	s_delay_alu instid0(SALU_CYCLE_1)
	s_cmp_lt_u32 s16, s28
	s_cbranch_scc0 .LBB89_21
.LBB89_3:                               ; =>This Loop Header: Depth=1
                                        ;     Child Loop BB89_15 Depth 2
	s_wait_dscnt 0x0
	v_mov_b32_e32 v2, s16
	v_mov_b64_e32 v[4:5], 0
	s_clause 0x1
	global_load_b64 v[14:15], v2, s[8:9] scale_offset
	global_load_b64 v[12:13], v2, s[12:13] scale_offset
	s_wait_xcnt 0x0
	v_mov_b64_e32 v[2:3], 0
	s_and_saveexec_b32 s4, vcc_lo
	s_cbranch_execnz .LBB89_12
; %bb.4:                                ;   in Loop: Header=BB89_3 Depth=1
	s_or_b32 exec_lo, exec_lo, s4
	s_and_saveexec_b32 s5, s3
	s_cbranch_execnz .LBB89_13
.LBB89_5:                               ;   in Loop: Header=BB89_3 Depth=1
	s_or_b32 exec_lo, exec_lo, s5
	s_and_saveexec_b32 s4, s0
	s_cbranch_execz .LBB89_7
.LBB89_6:                               ;   in Loop: Header=BB89_3 Depth=1
	s_wait_loadcnt 0x0
	v_dual_mov_b32 v12, v7 :: v_dual_mov_b32 v13, v7
	v_dual_mov_b32 v14, v7 :: v_dual_mov_b32 v15, v7
	ds_store_b128 v1, v[12:15]
.LBB89_7:                               ;   in Loop: Header=BB89_3 Depth=1
	s_or_b32 exec_lo, exec_lo, s4
	s_wait_loadcnt 0x0
	ds_bpermute_b32 v12, v16, v4
	ds_bpermute_b32 v13, v16, v5
	ds_bpermute_b32 v14, v16, v2
	ds_bpermute_b32 v15, v16, v3
	s_wait_dscnt 0x0
	s_barrier_signal -1
	s_barrier_wait -1
	v_add_f64_e32 v[4:5], v[4:5], v[12:13]
	v_add_f64_e32 v[2:3], v[2:3], v[14:15]
	ds_bpermute_b32 v12, v18, v4
	ds_bpermute_b32 v13, v18, v5
	ds_bpermute_b32 v14, v18, v2
	ds_bpermute_b32 v15, v18, v3
	s_wait_dscnt 0x2
	v_add_f64_e32 v[4:5], v[4:5], v[12:13]
	s_wait_dscnt 0x0
	v_add_f64_e32 v[2:3], v[2:3], v[14:15]
	ds_bpermute_b32 v12, v19, v4
	ds_bpermute_b32 v13, v19, v5
	ds_bpermute_b32 v14, v19, v2
	ds_bpermute_b32 v15, v19, v3
	s_wait_dscnt 0x2
	v_add_f64_e32 v[4:5], v[4:5], v[12:13]
	s_wait_dscnt 0x0
	;; [unrolled: 8-line block ×3, first 2 shown]
	v_add_f64_e32 v[12:13], v[12:13], v[14:15]
	ds_bpermute_b32 v4, v21, v2
	ds_bpermute_b32 v5, v21, v3
	;; [unrolled: 1-line block ×4, first 2 shown]
	s_and_saveexec_b32 s4, s2
	s_cbranch_execz .LBB89_9
; %bb.8:                                ;   in Loop: Header=BB89_3 Depth=1
	s_wait_dscnt 0x0
	v_add_f64_e32 v[14:15], v[12:13], v[14:15]
	v_add_f64_e32 v[12:13], v[2:3], v[4:5]
	ds_store_b128 v17, v[12:15]
.LBB89_9:                               ;   in Loop: Header=BB89_3 Depth=1
	s_or_b32 exec_lo, exec_lo, s4
	s_wait_dscnt 0x2
	v_mov_b64_e32 v[4:5], 0
	v_mov_b64_e32 v[2:3], 0
	s_wait_dscnt 0x0
	s_barrier_signal -1
	s_barrier_wait -1
	s_and_saveexec_b32 s4, s1
	s_cbranch_execnz .LBB89_17
; %bb.10:                               ;   in Loop: Header=BB89_3 Depth=1
	s_or_b32 exec_lo, exec_lo, s4
	s_and_saveexec_b32 s4, s0
	s_cbranch_execnz .LBB89_18
.LBB89_11:                              ;   in Loop: Header=BB89_3 Depth=1
	s_or_b32 exec_lo, exec_lo, s4
	s_and_saveexec_b32 s4, vcc_lo
	s_cbranch_execz .LBB89_2
	s_branch .LBB89_19
.LBB89_12:                              ;   in Loop: Header=BB89_3 Depth=1
	s_wait_loadcnt 0x1
	v_add_nc_u64_e32 v[2:3], s[10:11], v[14:15]
	s_wait_loadcnt 0x0
	v_add_nc_u64_e32 v[4:5], s[14:15], v[12:13]
	s_delay_alu instid0(VALU_DEP_2) | instskip(NEXT) | instid1(VALU_DEP_2)
	v_add_nc_u64_e32 v[2:3], v[2:3], v[6:7]
	v_add_nc_u64_e32 v[26:27], s[26:27], v[4:5]
	s_delay_alu instid0(VALU_DEP_2) | instskip(NEXT) | instid1(VALU_DEP_1)
	v_lshl_add_u64 v[2:3], s[20:21], 4, v[2:3]
	v_lshl_add_u64 v[28:29], s[18:19], 4, v[2:3]
	flat_load_b128 v[2:5], v[26:27]
	flat_load_b128 v[22:25], v[28:29]
	s_wait_loadcnt_dscnt 0x0
	s_wait_xcnt 0x1
	v_mul_f64_e32 v[26:27], v[24:25], v[4:5]
	v_mul_f64_e32 v[24:25], v[24:25], v[2:3]
	s_delay_alu instid0(VALU_DEP_2) | instskip(NEXT) | instid1(VALU_DEP_2)
	v_fmac_f64_e32 v[26:27], v[22:23], v[2:3]
	v_fma_f64 v[2:3], v[22:23], v[4:5], -v[24:25]
	s_delay_alu instid0(VALU_DEP_2) | instskip(NEXT) | instid1(VALU_DEP_2)
	v_add_f64_e32 v[4:5], 0, v[26:27]
	v_add_f64_e32 v[2:3], 0, v[2:3]
	s_wait_xcnt 0x0
	s_or_b32 exec_lo, exec_lo, s4
	s_and_saveexec_b32 s5, s3
	s_cbranch_execz .LBB89_5
.LBB89_13:                              ;   in Loop: Header=BB89_3 Depth=1
	s_wait_loadcnt 0x0
	v_add_nc_u64_e32 v[12:13], v[12:13], v[10:11]
	v_add_nc_u64_e32 v[14:15], v[14:15], v[8:9]
	v_mov_b32_e32 v22, v0
	s_mov_b32 s30, 0
	s_branch .LBB89_15
.LBB89_14:                              ;   in Loop: Header=BB89_15 Depth=2
	s_wait_xcnt 0x0
	s_or_b32 exec_lo, exec_lo, s31
	v_add_nc_u32_e32 v22, 0x200, v22
	v_add_nc_u64_e32 v[12:13], s[24:25], v[12:13]
	v_add_nc_u64_e32 v[14:15], 0x2000, v[14:15]
	s_delay_alu instid0(VALU_DEP_3) | instskip(SKIP_1) | instid1(SALU_CYCLE_1)
	v_cmp_le_i32_e64 s4, s29, v22
	s_or_b32 s30, s4, s30
	s_and_not1_b32 exec_lo, exec_lo, s30
	s_cbranch_execz .LBB89_20
.LBB89_15:                              ;   Parent Loop BB89_3 Depth=1
                                        ; =>  This Inner Loop Header: Depth=2
	s_mov_b32 s31, exec_lo
	s_delay_alu instid0(VALU_DEP_1)
	v_cmpx_gt_i32_e64 s18, v22
	s_cbranch_execz .LBB89_14
; %bb.16:                               ;   in Loop: Header=BB89_15 Depth=2
	flat_load_b128 v[24:27], v[14:15] offset:-8
	flat_load_b128 v[28:31], v[12:13] offset:-8
	s_wait_loadcnt_dscnt 0x0
	v_mul_f64_e32 v[32:33], v[26:27], v[30:31]
	v_mul_f64_e32 v[26:27], v[26:27], v[28:29]
	s_delay_alu instid0(VALU_DEP_2) | instskip(NEXT) | instid1(VALU_DEP_2)
	v_fmac_f64_e32 v[32:33], v[24:25], v[28:29]
	v_fma_f64 v[24:25], v[24:25], v[30:31], -v[26:27]
	s_delay_alu instid0(VALU_DEP_2) | instskip(NEXT) | instid1(VALU_DEP_2)
	v_add_f64_e32 v[4:5], v[4:5], v[32:33]
	v_add_f64_e32 v[2:3], v[2:3], v[24:25]
	s_branch .LBB89_14
.LBB89_17:                              ;   in Loop: Header=BB89_3 Depth=1
	ds_load_b128 v[2:5], v1
	s_or_b32 exec_lo, exec_lo, s4
	s_and_saveexec_b32 s4, s0
	s_cbranch_execz .LBB89_11
.LBB89_18:                              ;   in Loop: Header=BB89_3 Depth=1
	s_wait_dscnt 0x0
	ds_bpermute_b32 v12, v18, v2
	ds_bpermute_b32 v13, v18, v3
	ds_bpermute_b32 v14, v18, v4
	ds_bpermute_b32 v15, v18, v5
	s_wait_dscnt 0x2
	v_add_f64_e32 v[2:3], v[2:3], v[12:13]
	s_wait_dscnt 0x0
	v_add_f64_e32 v[4:5], v[4:5], v[14:15]
	ds_bpermute_b32 v12, v19, v2
	ds_bpermute_b32 v13, v19, v3
	ds_bpermute_b32 v14, v19, v4
	ds_bpermute_b32 v15, v19, v5
	s_wait_dscnt 0x2
	v_add_f64_e32 v[2:3], v[2:3], v[12:13]
	s_wait_dscnt 0x0
	v_add_f64_e32 v[4:5], v[4:5], v[14:15]
	;; [unrolled: 8-line block ×4, first 2 shown]
	s_or_b32 exec_lo, exec_lo, s4
	s_and_saveexec_b32 s4, vcc_lo
	s_cbranch_execz .LBB89_2
.LBB89_19:                              ;   in Loop: Header=BB89_3 Depth=1
	s_mul_u64 s[30:31], s[6:7], s[16:17]
	s_delay_alu instid0(SALU_CYCLE_1) | instskip(NEXT) | instid1(SALU_CYCLE_1)
	s_lshl_b64 s[30:31], s[30:31], 4
	s_add_nc_u64 s[30:31], s[22:23], s[30:31]
	s_wait_dscnt 0x0
	global_store_b128 v7, v[2:5], s[30:31]
	s_branch .LBB89_2
.LBB89_20:                              ;   in Loop: Header=BB89_3 Depth=1
	s_or_b32 exec_lo, exec_lo, s30
	s_delay_alu instid0(SALU_CYCLE_1)
	s_or_b32 exec_lo, exec_lo, s5
	s_and_saveexec_b32 s4, s0
	s_cbranch_execnz .LBB89_6
	s_branch .LBB89_7
.LBB89_21:
	s_endpgm
	.section	.rodata,"a",@progbits
	.p2align	6, 0x0
	.amdhsa_kernel _ZL20rocblas_trmvt_kernelILi512ELb0ELb1ELb0EPKPK19rocblas_complex_numIdEPKPS1_S6_EviT3_lllT4_lllT5_li
		.amdhsa_group_segment_fixed_size 512
		.amdhsa_private_segment_fixed_size 0
		.amdhsa_kernarg_size 92
		.amdhsa_user_sgpr_count 2
		.amdhsa_user_sgpr_dispatch_ptr 0
		.amdhsa_user_sgpr_queue_ptr 0
		.amdhsa_user_sgpr_kernarg_segment_ptr 1
		.amdhsa_user_sgpr_dispatch_id 0
		.amdhsa_user_sgpr_kernarg_preload_length 0
		.amdhsa_user_sgpr_kernarg_preload_offset 0
		.amdhsa_user_sgpr_private_segment_size 0
		.amdhsa_wavefront_size32 1
		.amdhsa_uses_dynamic_stack 0
		.amdhsa_enable_private_segment 0
		.amdhsa_system_sgpr_workgroup_id_x 1
		.amdhsa_system_sgpr_workgroup_id_y 0
		.amdhsa_system_sgpr_workgroup_id_z 1
		.amdhsa_system_sgpr_workgroup_info 0
		.amdhsa_system_vgpr_workitem_id 0
		.amdhsa_next_free_vgpr 34
		.amdhsa_next_free_sgpr 32
		.amdhsa_named_barrier_count 0
		.amdhsa_reserve_vcc 1
		.amdhsa_float_round_mode_32 0
		.amdhsa_float_round_mode_16_64 0
		.amdhsa_float_denorm_mode_32 3
		.amdhsa_float_denorm_mode_16_64 3
		.amdhsa_fp16_overflow 0
		.amdhsa_memory_ordered 1
		.amdhsa_forward_progress 1
		.amdhsa_inst_pref_size 12
		.amdhsa_round_robin_scheduling 0
		.amdhsa_exception_fp_ieee_invalid_op 0
		.amdhsa_exception_fp_denorm_src 0
		.amdhsa_exception_fp_ieee_div_zero 0
		.amdhsa_exception_fp_ieee_overflow 0
		.amdhsa_exception_fp_ieee_underflow 0
		.amdhsa_exception_fp_ieee_inexact 0
		.amdhsa_exception_int_div_zero 0
	.end_amdhsa_kernel
	.section	.text._ZL20rocblas_trmvt_kernelILi512ELb0ELb1ELb0EPKPK19rocblas_complex_numIdEPKPS1_S6_EviT3_lllT4_lllT5_li,"axG",@progbits,_ZL20rocblas_trmvt_kernelILi512ELb0ELb1ELb0EPKPK19rocblas_complex_numIdEPKPS1_S6_EviT3_lllT4_lllT5_li,comdat
.Lfunc_end89:
	.size	_ZL20rocblas_trmvt_kernelILi512ELb0ELb1ELb0EPKPK19rocblas_complex_numIdEPKPS1_S6_EviT3_lllT4_lllT5_li, .Lfunc_end89-_ZL20rocblas_trmvt_kernelILi512ELb0ELb1ELb0EPKPK19rocblas_complex_numIdEPKPS1_S6_EviT3_lllT4_lllT5_li
                                        ; -- End function
	.set _ZL20rocblas_trmvt_kernelILi512ELb0ELb1ELb0EPKPK19rocblas_complex_numIdEPKPS1_S6_EviT3_lllT4_lllT5_li.num_vgpr, 34
	.set _ZL20rocblas_trmvt_kernelILi512ELb0ELb1ELb0EPKPK19rocblas_complex_numIdEPKPS1_S6_EviT3_lllT4_lllT5_li.num_agpr, 0
	.set _ZL20rocblas_trmvt_kernelILi512ELb0ELb1ELb0EPKPK19rocblas_complex_numIdEPKPS1_S6_EviT3_lllT4_lllT5_li.numbered_sgpr, 32
	.set _ZL20rocblas_trmvt_kernelILi512ELb0ELb1ELb0EPKPK19rocblas_complex_numIdEPKPS1_S6_EviT3_lllT4_lllT5_li.num_named_barrier, 0
	.set _ZL20rocblas_trmvt_kernelILi512ELb0ELb1ELb0EPKPK19rocblas_complex_numIdEPKPS1_S6_EviT3_lllT4_lllT5_li.private_seg_size, 0
	.set _ZL20rocblas_trmvt_kernelILi512ELb0ELb1ELb0EPKPK19rocblas_complex_numIdEPKPS1_S6_EviT3_lllT4_lllT5_li.uses_vcc, 1
	.set _ZL20rocblas_trmvt_kernelILi512ELb0ELb1ELb0EPKPK19rocblas_complex_numIdEPKPS1_S6_EviT3_lllT4_lllT5_li.uses_flat_scratch, 0
	.set _ZL20rocblas_trmvt_kernelILi512ELb0ELb1ELb0EPKPK19rocblas_complex_numIdEPKPS1_S6_EviT3_lllT4_lllT5_li.has_dyn_sized_stack, 0
	.set _ZL20rocblas_trmvt_kernelILi512ELb0ELb1ELb0EPKPK19rocblas_complex_numIdEPKPS1_S6_EviT3_lllT4_lllT5_li.has_recursion, 0
	.set _ZL20rocblas_trmvt_kernelILi512ELb0ELb1ELb0EPKPK19rocblas_complex_numIdEPKPS1_S6_EviT3_lllT4_lllT5_li.has_indirect_call, 0
	.section	.AMDGPU.csdata,"",@progbits
; Kernel info:
; codeLenInByte = 1496
; TotalNumSgprs: 34
; NumVgprs: 34
; ScratchSize: 0
; MemoryBound: 0
; FloatMode: 240
; IeeeMode: 1
; LDSByteSize: 512 bytes/workgroup (compile time only)
; SGPRBlocks: 0
; VGPRBlocks: 2
; NumSGPRsForWavesPerEU: 34
; NumVGPRsForWavesPerEU: 34
; NamedBarCnt: 0
; Occupancy: 16
; WaveLimiterHint : 1
; COMPUTE_PGM_RSRC2:SCRATCH_EN: 0
; COMPUTE_PGM_RSRC2:USER_SGPR: 2
; COMPUTE_PGM_RSRC2:TRAP_HANDLER: 0
; COMPUTE_PGM_RSRC2:TGID_X_EN: 1
; COMPUTE_PGM_RSRC2:TGID_Y_EN: 0
; COMPUTE_PGM_RSRC2:TGID_Z_EN: 1
; COMPUTE_PGM_RSRC2:TIDIG_COMP_CNT: 0
	.section	.text._ZL20rocblas_trmvn_kernelILi64ELi16ELb1ELb1EPKPK19rocblas_complex_numIdEPKPS1_S6_EviT3_lllT4_lllT5_li,"axG",@progbits,_ZL20rocblas_trmvn_kernelILi64ELi16ELb1ELb1EPKPK19rocblas_complex_numIdEPKPS1_S6_EviT3_lllT4_lllT5_li,comdat
	.globl	_ZL20rocblas_trmvn_kernelILi64ELi16ELb1ELb1EPKPK19rocblas_complex_numIdEPKPS1_S6_EviT3_lllT4_lllT5_li ; -- Begin function _ZL20rocblas_trmvn_kernelILi64ELi16ELb1ELb1EPKPK19rocblas_complex_numIdEPKPS1_S6_EviT3_lllT4_lllT5_li
	.p2align	8
	.type	_ZL20rocblas_trmvn_kernelILi64ELi16ELb1ELb1EPKPK19rocblas_complex_numIdEPKPS1_S6_EviT3_lllT4_lllT5_li,@function
_ZL20rocblas_trmvn_kernelILi64ELi16ELb1ELb1EPKPK19rocblas_complex_numIdEPKPS1_S6_EviT3_lllT4_lllT5_li: ; @_ZL20rocblas_trmvn_kernelILi64ELi16ELb1ELb1EPKPK19rocblas_complex_numIdEPKPS1_S6_EviT3_lllT4_lllT5_li
; %bb.0:
	s_load_b32 s3, s[0:1], 0x58
	s_bfe_u32 s2, ttmp6, 0x40014
	s_lshr_b32 s4, ttmp7, 16
	s_add_co_i32 s2, s2, 1
	s_bfe_u32 s6, ttmp6, 0x40008
	s_mul_i32 s5, s4, s2
	s_getreg_b32 s2, hwreg(HW_REG_IB_STS2, 6, 4)
	s_add_co_i32 s6, s6, s5
	s_cmp_eq_u32 s2, 0
	s_mov_b32 s17, 0
	s_cselect_b32 s16, s4, s6
	s_wait_kmcnt 0x0
	s_cmp_ge_u32 s16, s3
	s_cbranch_scc1 .LBB90_14
; %bb.1:
	s_clause 0x3
	s_load_b64 s[20:21], s[0:1], 0x18
	s_load_b32 s8, s[0:1], 0x6c
	s_load_b64 s[22:23], s[0:1], 0x38
	s_load_b128 s[4:7], s[0:1], 0x28
	s_bfe_u32 s9, ttmp6, 0x4000c
	s_and_b32 s10, ttmp6, 15
	s_add_co_i32 s9, s9, 1
	v_and_b32_e32 v10, 0x3ff, v0
	s_mul_i32 s9, ttmp9, s9
	v_bfe_u32 v4, v0, 10, 10
	s_add_co_i32 s12, s10, s9
	s_delay_alu instid0(VALU_DEP_2)
	v_lshlrev_b32_e32 v16, 4, v10
	s_wait_kmcnt 0x0
	s_and_b32 s19, s8, 0xffff
	s_cmp_eq_u32 s2, 0
	s_load_b128 s[8:11], s[0:1], 0x48
	s_cselect_b32 s2, ttmp9, s12
	s_clause 0x1
	s_load_b128 s[12:15], s[0:1], 0x8
	s_load_b32 s18, s[0:1], 0x0
	v_lshl_add_u32 v6, s2, 6, v10
	v_mov_b32_e32 v5, 0
	s_lshl_b64 s[6:7], s[6:7], 4
	v_mul_u32_u24_e32 v17, s19, v4
	v_cmp_eq_u32_e64 s2, 0, v4
	v_ashrrev_i32_e32 v7, 31, v6
	v_mul_u64_e32 v[0:1], s[20:21], v[4:5]
	v_mul_u64_e32 v[2:3], s[22:23], v[4:5]
	v_mad_u32_u24 v5, v4, s19, v10
	s_delay_alu instid0(VALU_DEP_4) | instskip(SKIP_2) | instid1(VALU_DEP_1)
	v_mul_u64_e32 v[8:9], s[22:23], v[6:7]
	v_lshlrev_b64_e32 v[14:15], 4, v[6:7]
	v_lshlrev_b32_e32 v7, 10, v4
	v_add_nc_u32_e32 v7, v16, v7
	s_wait_kmcnt 0x0
	s_lshl_b64 s[0:1], s[14:15], 4
	s_lshl_b64 s[14:15], s[20:21], 8
	v_cmp_gt_i32_e32 vcc_lo, s18, v4
	v_lshl_add_u64 v[0:1], v[0:1], 4, s[0:1]
	v_lshl_add_u64 v[12:13], v[2:3], 4, s[6:7]
	v_cmp_gt_i32_e64 s1, s18, v6
	v_cmp_gt_u32_e64 s0, 64, v5
	v_lshl_add_u32 v5, v17, 4, v16
	v_add_nc_u64_e32 v[10:11], v[0:1], v[14:15]
	v_add_nc_u64_e32 v[14:15], s[8:9], v[14:15]
	v_or_b32_e32 v12, 8, v12
	s_and_b32 s19, s2, s1
	s_lshl_b64 s[8:9], s[22:23], 8
	s_delay_alu instid0(VALU_DEP_3)
	v_or_b32_e32 v10, 8, v10
	s_branch .LBB90_3
.LBB90_2:                               ;   in Loop: Header=BB90_3 Depth=1
	s_wait_xcnt 0x0
	s_or_b32 exec_lo, exec_lo, s2
	s_add_co_i32 s16, s16, 0x10000
	s_delay_alu instid0(SALU_CYCLE_1)
	s_cmp_lt_u32 s16, s3
	s_cbranch_scc0 .LBB90_14
.LBB90_3:                               ; =>This Loop Header: Depth=1
                                        ;     Child Loop BB90_8 Depth 2
	v_mov_b32_e32 v0, s16
	v_mov_b64_e32 v[2:3], 0
	s_clause 0x1
	global_load_b64 v[18:19], v0, s[12:13] scale_offset
	global_load_b64 v[16:17], v0, s[4:5] scale_offset
	s_wait_xcnt 0x0
	v_mov_b64_e32 v[0:1], 0
	s_and_saveexec_b32 s2, s19
	s_cbranch_execz .LBB90_5
; %bb.4:                                ;   in Loop: Header=BB90_3 Depth=1
	s_wait_loadcnt 0x0
	v_add_nc_u64_e32 v[0:1], s[6:7], v[16:17]
	s_delay_alu instid0(VALU_DEP_1)
	v_lshl_add_u64 v[0:1], v[8:9], 4, v[0:1]
	flat_load_b128 v[0:3], v[0:1]
.LBB90_5:                               ;   in Loop: Header=BB90_3 Depth=1
	s_wait_xcnt 0x0
	s_or_b32 exec_lo, exec_lo, s2
	s_and_saveexec_b32 s20, vcc_lo
	s_cbranch_execz .LBB90_11
; %bb.6:                                ;   in Loop: Header=BB90_3 Depth=1
	s_wait_loadcnt 0x0
	v_add_nc_u64_e32 v[16:17], v[16:17], v[12:13]
	v_add_nc_u64_e32 v[18:19], v[18:19], v[10:11]
	v_mov_b32_e32 v20, v4
	s_mov_b32 s21, 0
	s_branch .LBB90_8
.LBB90_7:                               ;   in Loop: Header=BB90_8 Depth=2
	s_wait_xcnt 0x0
	s_or_b32 exec_lo, exec_lo, s2
	v_add_nc_u32_e32 v20, 16, v20
	v_add_nc_u64_e32 v[16:17], s[8:9], v[16:17]
	v_add_nc_u64_e32 v[18:19], s[14:15], v[18:19]
	s_delay_alu instid0(VALU_DEP_3) | instskip(SKIP_1) | instid1(SALU_CYCLE_1)
	v_cmp_le_i32_e64 s2, s18, v20
	s_or_b32 s21, s2, s21
	s_and_not1_b32 exec_lo, exec_lo, s21
	s_cbranch_execz .LBB90_10
.LBB90_8:                               ;   Parent Loop BB90_3 Depth=1
                                        ; =>  This Inner Loop Header: Depth=2
	s_delay_alu instid0(VALU_DEP_1) | instskip(SKIP_1) | instid1(SALU_CYCLE_1)
	v_cmp_lt_i32_e64 s2, v20, v6
	s_and_b32 s22, s1, s2
	s_and_saveexec_b32 s2, s22
	s_cbranch_execz .LBB90_7
; %bb.9:                                ;   in Loop: Header=BB90_8 Depth=2
	flat_load_b128 v[22:25], v[16:17] offset:-8
	flat_load_b128 v[26:29], v[18:19] offset:-8
	s_wait_loadcnt_dscnt 0x0
	v_mul_f64_e32 v[30:31], v[24:25], v[28:29]
	v_mul_f64_e32 v[28:29], v[22:23], v[28:29]
	s_delay_alu instid0(VALU_DEP_2) | instskip(NEXT) | instid1(VALU_DEP_2)
	v_fma_f64 v[22:23], v[22:23], v[26:27], -v[30:31]
	v_fmac_f64_e32 v[28:29], v[24:25], v[26:27]
	s_delay_alu instid0(VALU_DEP_2) | instskip(NEXT) | instid1(VALU_DEP_2)
	v_add_f64_e32 v[0:1], v[0:1], v[22:23]
	v_add_f64_e32 v[2:3], v[2:3], v[28:29]
	s_branch .LBB90_7
.LBB90_10:                              ;   in Loop: Header=BB90_3 Depth=1
	s_or_b32 exec_lo, exec_lo, s21
.LBB90_11:                              ;   in Loop: Header=BB90_3 Depth=1
	s_delay_alu instid0(SALU_CYCLE_1)
	s_or_b32 exec_lo, exec_lo, s20
	s_wait_loadcnt_dscnt 0x0
	ds_store_b128 v7, v[0:3]
	s_wait_dscnt 0x0
	s_barrier_signal -1
	s_barrier_wait -1
	s_and_saveexec_b32 s2, s0
	s_cbranch_execz .LBB90_2
; %bb.12:                               ;   in Loop: Header=BB90_3 Depth=1
	ds_load_b128 v[0:3], v5
	ds_load_b128 v[16:19], v5 offset:1024
	s_wait_dscnt 0x0
	v_add_f64_e32 v[20:21], v[0:1], v[16:17]
	v_add_f64_e32 v[22:23], v[2:3], v[18:19]
	ds_load_b128 v[0:3], v5 offset:2048
	ds_load_b128 v[16:19], v5 offset:3072
	s_wait_dscnt 0x1
	v_add_f64_e32 v[0:1], v[20:21], v[0:1]
	v_add_f64_e32 v[2:3], v[22:23], v[2:3]
	s_wait_dscnt 0x0
	s_delay_alu instid0(VALU_DEP_2) | instskip(NEXT) | instid1(VALU_DEP_2)
	v_add_f64_e32 v[20:21], v[0:1], v[16:17]
	v_add_f64_e32 v[22:23], v[2:3], v[18:19]
	ds_load_b128 v[0:3], v5 offset:4096
	ds_load_b128 v[16:19], v5 offset:5120
	s_wait_dscnt 0x1
	v_add_f64_e32 v[0:1], v[20:21], v[0:1]
	v_add_f64_e32 v[2:3], v[22:23], v[2:3]
	s_wait_dscnt 0x0
	s_delay_alu instid0(VALU_DEP_2) | instskip(NEXT) | instid1(VALU_DEP_2)
	v_add_f64_e32 v[20:21], v[0:1], v[16:17]
	v_add_f64_e32 v[22:23], v[2:3], v[18:19]
	ds_load_b128 v[0:3], v5 offset:6144
	ds_load_b128 v[16:19], v5 offset:7168
	s_wait_dscnt 0x1
	v_add_f64_e32 v[0:1], v[20:21], v[0:1]
	v_add_f64_e32 v[2:3], v[22:23], v[2:3]
	s_wait_dscnt 0x0
	s_delay_alu instid0(VALU_DEP_2) | instskip(NEXT) | instid1(VALU_DEP_2)
	v_add_f64_e32 v[20:21], v[0:1], v[16:17]
	v_add_f64_e32 v[22:23], v[2:3], v[18:19]
	ds_load_b128 v[0:3], v5 offset:8192
	ds_load_b128 v[16:19], v5 offset:9216
	s_wait_dscnt 0x1
	v_add_f64_e32 v[0:1], v[20:21], v[0:1]
	v_add_f64_e32 v[2:3], v[22:23], v[2:3]
	s_wait_dscnt 0x0
	s_delay_alu instid0(VALU_DEP_2) | instskip(NEXT) | instid1(VALU_DEP_2)
	v_add_f64_e32 v[20:21], v[0:1], v[16:17]
	v_add_f64_e32 v[22:23], v[2:3], v[18:19]
	ds_load_b128 v[0:3], v5 offset:10240
	ds_load_b128 v[16:19], v5 offset:11264
	s_wait_dscnt 0x1
	v_add_f64_e32 v[0:1], v[20:21], v[0:1]
	v_add_f64_e32 v[2:3], v[22:23], v[2:3]
	s_wait_dscnt 0x0
	s_delay_alu instid0(VALU_DEP_2) | instskip(NEXT) | instid1(VALU_DEP_2)
	v_add_f64_e32 v[20:21], v[0:1], v[16:17]
	v_add_f64_e32 v[22:23], v[2:3], v[18:19]
	ds_load_b128 v[0:3], v5 offset:12288
	ds_load_b128 v[16:19], v5 offset:13312
	s_wait_dscnt 0x1
	v_add_f64_e32 v[0:1], v[20:21], v[0:1]
	v_add_f64_e32 v[2:3], v[22:23], v[2:3]
	s_wait_dscnt 0x0
	s_delay_alu instid0(VALU_DEP_2) | instskip(NEXT) | instid1(VALU_DEP_2)
	v_add_f64_e32 v[20:21], v[0:1], v[16:17]
	v_add_f64_e32 v[22:23], v[2:3], v[18:19]
	ds_load_b128 v[0:3], v5 offset:14336
	ds_load_b128 v[16:19], v5 offset:15360
	s_wait_dscnt 0x1
	v_add_f64_e32 v[0:1], v[20:21], v[0:1]
	v_add_f64_e32 v[2:3], v[22:23], v[2:3]
	s_wait_dscnt 0x0
	s_delay_alu instid0(VALU_DEP_2) | instskip(NEXT) | instid1(VALU_DEP_2)
	v_add_f64_e32 v[0:1], v[0:1], v[16:17]
	v_add_f64_e32 v[2:3], v[2:3], v[18:19]
	ds_store_b128 v5, v[0:3]
	s_and_b32 exec_lo, exec_lo, s1
	s_cbranch_execz .LBB90_2
; %bb.13:                               ;   in Loop: Header=BB90_3 Depth=1
	ds_load_2addr_b64 v[0:3], v5 offset1:1
	s_mul_u64 s[20:21], s[10:11], s[16:17]
	s_delay_alu instid0(SALU_CYCLE_1)
	v_lshl_add_u64 v[16:17], s[20:21], 4, v[14:15]
	s_wait_dscnt 0x0
	global_store_b128 v[16:17], v[0:3], off
	s_branch .LBB90_2
.LBB90_14:
	s_endpgm
	.section	.rodata,"a",@progbits
	.p2align	6, 0x0
	.amdhsa_kernel _ZL20rocblas_trmvn_kernelILi64ELi16ELb1ELb1EPKPK19rocblas_complex_numIdEPKPS1_S6_EviT3_lllT4_lllT5_li
		.amdhsa_group_segment_fixed_size 16384
		.amdhsa_private_segment_fixed_size 0
		.amdhsa_kernarg_size 352
		.amdhsa_user_sgpr_count 2
		.amdhsa_user_sgpr_dispatch_ptr 0
		.amdhsa_user_sgpr_queue_ptr 0
		.amdhsa_user_sgpr_kernarg_segment_ptr 1
		.amdhsa_user_sgpr_dispatch_id 0
		.amdhsa_user_sgpr_kernarg_preload_length 0
		.amdhsa_user_sgpr_kernarg_preload_offset 0
		.amdhsa_user_sgpr_private_segment_size 0
		.amdhsa_wavefront_size32 1
		.amdhsa_uses_dynamic_stack 0
		.amdhsa_enable_private_segment 0
		.amdhsa_system_sgpr_workgroup_id_x 1
		.amdhsa_system_sgpr_workgroup_id_y 0
		.amdhsa_system_sgpr_workgroup_id_z 1
		.amdhsa_system_sgpr_workgroup_info 0
		.amdhsa_system_vgpr_workitem_id 1
		.amdhsa_next_free_vgpr 32
		.amdhsa_next_free_sgpr 24
		.amdhsa_named_barrier_count 0
		.amdhsa_reserve_vcc 1
		.amdhsa_float_round_mode_32 0
		.amdhsa_float_round_mode_16_64 0
		.amdhsa_float_denorm_mode_32 3
		.amdhsa_float_denorm_mode_16_64 3
		.amdhsa_fp16_overflow 0
		.amdhsa_memory_ordered 1
		.amdhsa_forward_progress 1
		.amdhsa_inst_pref_size 9
		.amdhsa_round_robin_scheduling 0
		.amdhsa_exception_fp_ieee_invalid_op 0
		.amdhsa_exception_fp_denorm_src 0
		.amdhsa_exception_fp_ieee_div_zero 0
		.amdhsa_exception_fp_ieee_overflow 0
		.amdhsa_exception_fp_ieee_underflow 0
		.amdhsa_exception_fp_ieee_inexact 0
		.amdhsa_exception_int_div_zero 0
	.end_amdhsa_kernel
	.section	.text._ZL20rocblas_trmvn_kernelILi64ELi16ELb1ELb1EPKPK19rocblas_complex_numIdEPKPS1_S6_EviT3_lllT4_lllT5_li,"axG",@progbits,_ZL20rocblas_trmvn_kernelILi64ELi16ELb1ELb1EPKPK19rocblas_complex_numIdEPKPS1_S6_EviT3_lllT4_lllT5_li,comdat
.Lfunc_end90:
	.size	_ZL20rocblas_trmvn_kernelILi64ELi16ELb1ELb1EPKPK19rocblas_complex_numIdEPKPS1_S6_EviT3_lllT4_lllT5_li, .Lfunc_end90-_ZL20rocblas_trmvn_kernelILi64ELi16ELb1ELb1EPKPK19rocblas_complex_numIdEPKPS1_S6_EviT3_lllT4_lllT5_li
                                        ; -- End function
	.set _ZL20rocblas_trmvn_kernelILi64ELi16ELb1ELb1EPKPK19rocblas_complex_numIdEPKPS1_S6_EviT3_lllT4_lllT5_li.num_vgpr, 32
	.set _ZL20rocblas_trmvn_kernelILi64ELi16ELb1ELb1EPKPK19rocblas_complex_numIdEPKPS1_S6_EviT3_lllT4_lllT5_li.num_agpr, 0
	.set _ZL20rocblas_trmvn_kernelILi64ELi16ELb1ELb1EPKPK19rocblas_complex_numIdEPKPS1_S6_EviT3_lllT4_lllT5_li.numbered_sgpr, 24
	.set _ZL20rocblas_trmvn_kernelILi64ELi16ELb1ELb1EPKPK19rocblas_complex_numIdEPKPS1_S6_EviT3_lllT4_lllT5_li.num_named_barrier, 0
	.set _ZL20rocblas_trmvn_kernelILi64ELi16ELb1ELb1EPKPK19rocblas_complex_numIdEPKPS1_S6_EviT3_lllT4_lllT5_li.private_seg_size, 0
	.set _ZL20rocblas_trmvn_kernelILi64ELi16ELb1ELb1EPKPK19rocblas_complex_numIdEPKPS1_S6_EviT3_lllT4_lllT5_li.uses_vcc, 1
	.set _ZL20rocblas_trmvn_kernelILi64ELi16ELb1ELb1EPKPK19rocblas_complex_numIdEPKPS1_S6_EviT3_lllT4_lllT5_li.uses_flat_scratch, 0
	.set _ZL20rocblas_trmvn_kernelILi64ELi16ELb1ELb1EPKPK19rocblas_complex_numIdEPKPS1_S6_EviT3_lllT4_lllT5_li.has_dyn_sized_stack, 0
	.set _ZL20rocblas_trmvn_kernelILi64ELi16ELb1ELb1EPKPK19rocblas_complex_numIdEPKPS1_S6_EviT3_lllT4_lllT5_li.has_recursion, 0
	.set _ZL20rocblas_trmvn_kernelILi64ELi16ELb1ELb1EPKPK19rocblas_complex_numIdEPKPS1_S6_EviT3_lllT4_lllT5_li.has_indirect_call, 0
	.section	.AMDGPU.csdata,"",@progbits
; Kernel info:
; codeLenInByte = 1088
; TotalNumSgprs: 26
; NumVgprs: 32
; ScratchSize: 0
; MemoryBound: 1
; FloatMode: 240
; IeeeMode: 1
; LDSByteSize: 16384 bytes/workgroup (compile time only)
; SGPRBlocks: 0
; VGPRBlocks: 1
; NumSGPRsForWavesPerEU: 26
; NumVGPRsForWavesPerEU: 32
; NamedBarCnt: 0
; Occupancy: 16
; WaveLimiterHint : 1
; COMPUTE_PGM_RSRC2:SCRATCH_EN: 0
; COMPUTE_PGM_RSRC2:USER_SGPR: 2
; COMPUTE_PGM_RSRC2:TRAP_HANDLER: 0
; COMPUTE_PGM_RSRC2:TGID_X_EN: 1
; COMPUTE_PGM_RSRC2:TGID_Y_EN: 0
; COMPUTE_PGM_RSRC2:TGID_Z_EN: 1
; COMPUTE_PGM_RSRC2:TIDIG_COMP_CNT: 1
	.section	.text._ZL20rocblas_trmvt_kernelILi512ELb1ELb0ELb1EPKPK19rocblas_complex_numIdEPKPS1_S6_EviT3_lllT4_lllT5_li,"axG",@progbits,_ZL20rocblas_trmvt_kernelILi512ELb1ELb0ELb1EPKPK19rocblas_complex_numIdEPKPS1_S6_EviT3_lllT4_lllT5_li,comdat
	.globl	_ZL20rocblas_trmvt_kernelILi512ELb1ELb0ELb1EPKPK19rocblas_complex_numIdEPKPS1_S6_EviT3_lllT4_lllT5_li ; -- Begin function _ZL20rocblas_trmvt_kernelILi512ELb1ELb0ELb1EPKPK19rocblas_complex_numIdEPKPS1_S6_EviT3_lllT4_lllT5_li
	.p2align	8
	.type	_ZL20rocblas_trmvt_kernelILi512ELb1ELb0ELb1EPKPK19rocblas_complex_numIdEPKPS1_S6_EviT3_lllT4_lllT5_li,@function
_ZL20rocblas_trmvt_kernelILi512ELb1ELb0ELb1EPKPK19rocblas_complex_numIdEPKPS1_S6_EviT3_lllT4_lllT5_li: ; @_ZL20rocblas_trmvt_kernelILi512ELb1ELb0ELb1EPKPK19rocblas_complex_numIdEPKPS1_S6_EviT3_lllT4_lllT5_li
; %bb.0:
	s_load_b32 s24, s[0:1], 0x58
	s_bfe_u32 s2, ttmp6, 0x40014
	s_lshr_b32 s4, ttmp7, 16
	s_add_co_i32 s2, s2, 1
	s_bfe_u32 s5, ttmp6, 0x40008
	s_mul_i32 s2, s4, s2
	s_getreg_b32 s3, hwreg(HW_REG_IB_STS2, 6, 4)
	s_add_co_i32 s5, s5, s2
	s_cmp_eq_u32 s3, 0
	s_mov_b32 s17, 0
	s_cselect_b32 s16, s4, s5
	s_wait_kmcnt 0x0
	s_cmp_ge_u32 s16, s24
	s_cbranch_scc1 .LBB91_21
; %bb.1:
	s_clause 0x5
	s_load_b64 s[20:21], s[0:1], 0x38
	s_load_b32 s25, s[0:1], 0x0
	s_load_b128 s[8:11], s[0:1], 0x8
	s_load_b64 s[22:23], s[0:1], 0x18
	s_load_b128 s[12:15], s[0:1], 0x28
	s_load_b128 s[4:7], s[0:1], 0x48
	v_dual_mov_b32 v2, 0 :: v_dual_bitop2_b32 v3, 31, v0 bitop3:0x40
	v_mbcnt_lo_u32_b32 v12, -1, 0
	s_wait_xcnt 0x0
	s_bfe_u32 s1, ttmp6, 0x4000c
	s_delay_alu instid0(VALU_DEP_2)
	v_dual_mov_b32 v1, v2 :: v_dual_lshrrev_b32 v6, 1, v0
	s_add_co_i32 s2, s1, 1
	s_and_b32 s18, ttmp6, 15
	s_mul_i32 s19, ttmp9, s2
	v_cmp_gt_u32_e64 s2, 24, v12
	s_add_co_i32 s18, s18, s19
	s_cmp_eq_u32 s3, 0
	v_and_b32_e32 v17, 0xf0, v6
	s_cselect_b32 s18, ttmp9, s18
	s_wait_kmcnt 0x0
	v_mul_u64_e32 v[4:5], s[20:21], v[0:1]
	v_cndmask_b32_e64 v8, 0, 8, s2
	v_cmp_gt_u32_e64 s2, 28, v12
	v_cmp_gt_i32_e64 s3, s25, v0
	s_ashr_i32 s19, s18, 31
	v_dual_lshlrev_b32 v1, 4, v3 :: v_dual_mov_b32 v7, v2
	v_cndmask_b32_e64 v9, 0, 4, s2
	v_cmp_gt_u32_e64 s2, 30, v12
	s_mul_u64 s[22:23], s[22:23], s[18:19]
	s_lshl_b64 s[10:11], s[10:11], 4
	s_lshl_b64 s[22:23], s[22:23], 4
	v_add_lshl_u32 v18, v8, v12, 2
	v_cndmask_b32_e64 v13, 0, 2, s2
	v_cmp_ne_u32_e64 s2, 31, v12
	s_add_nc_u64 s[22:23], s[22:23], s[10:11]
	s_lshl_b64 s[10:11], s[14:15], 4
	v_add_lshl_u32 v19, v9, v12, 2
	v_cmp_gt_u32_e64 s0, 32, v0
	v_add_co_ci_u32_e64 v14, null, 0, v12, s2
	v_cmp_eq_u32_e64 s2, 0, v3
	v_cndmask_b32_e64 v3, 0, v0, s3
	v_cmp_gt_u32_e64 s1, 16, v0
	s_delay_alu instid0(VALU_DEP_4)
	v_lshlrev_b32_e32 v21, 2, v14
	v_lshl_or_b32 v16, v12, 2, 64
	v_add_lshl_u32 v20, v13, v12, 2
	s_lshl_b64 s[14:15], s[18:19], 4
	v_cmp_eq_u32_e32 vcc_lo, 0, v0
	s_add_nc_u64 s[14:15], s[4:5], s[14:15]
	v_lshl_add_u64 v[10:11], v[4:5], 4, s[10:11]
	s_delay_alu instid0(VALU_DEP_1) | instskip(NEXT) | instid1(VALU_DEP_1)
	v_dual_lshlrev_b32 v6, 4, v3 :: v_dual_bitop2_b32 v10, 8, v10 bitop3:0x54
	v_add_nc_u64_e32 v[8:9], s[22:23], v[6:7]
	s_mul_u64 s[22:23], s[20:21], s[18:19]
	s_lshl_b64 s[20:21], s[20:21], 13
	s_lshl_b64 s[22:23], s[22:23], 4
	s_delay_alu instid0(VALU_DEP_1)
	v_or_b32_e32 v8, 8, v8
	s_branch .LBB91_3
.LBB91_2:                               ;   in Loop: Header=BB91_3 Depth=1
	s_wait_xcnt 0x0
	s_or_b32 exec_lo, exec_lo, s4
	s_add_co_i32 s16, s16, 0x10000
	s_delay_alu instid0(SALU_CYCLE_1)
	s_cmp_lt_u32 s16, s24
	s_cbranch_scc0 .LBB91_21
.LBB91_3:                               ; =>This Loop Header: Depth=1
                                        ;     Child Loop BB91_15 Depth 2
	v_mov_b32_e32 v3, s16
	v_mov_b64_e32 v[12:13], 0
	s_wait_dscnt 0x0
	v_mov_b64_e32 v[6:7], 0
	s_clause 0x1
	global_load_b64 v[14:15], v3, s[8:9] scale_offset
	global_load_b64 v[4:5], v3, s[12:13] scale_offset
	s_wait_xcnt 0x0
	s_and_saveexec_b32 s4, vcc_lo
	s_cbranch_execnz .LBB91_12
; %bb.4:                                ;   in Loop: Header=BB91_3 Depth=1
	s_or_b32 exec_lo, exec_lo, s4
	s_and_saveexec_b32 s5, s3
	s_cbranch_execnz .LBB91_13
.LBB91_5:                               ;   in Loop: Header=BB91_3 Depth=1
	s_or_b32 exec_lo, exec_lo, s5
	s_and_saveexec_b32 s4, s0
	s_cbranch_execz .LBB91_7
.LBB91_6:                               ;   in Loop: Header=BB91_3 Depth=1
	s_wait_loadcnt 0x0
	v_dual_mov_b32 v3, v2 :: v_dual_mov_b32 v4, v2
	v_mov_b32_e32 v5, v2
	ds_store_b128 v1, v[2:5]
.LBB91_7:                               ;   in Loop: Header=BB91_3 Depth=1
	s_or_b32 exec_lo, exec_lo, s4
	s_wait_loadcnt 0x0
	ds_bpermute_b32 v4, v16, v12
	ds_bpermute_b32 v5, v16, v13
	;; [unrolled: 1-line block ×4, first 2 shown]
	s_wait_dscnt 0x0
	s_barrier_signal -1
	s_barrier_wait -1
	v_add_f64_e32 v[4:5], v[12:13], v[4:5]
	v_add_f64_e32 v[6:7], v[6:7], v[14:15]
	ds_bpermute_b32 v12, v18, v4
	ds_bpermute_b32 v13, v18, v5
	ds_bpermute_b32 v14, v18, v6
	ds_bpermute_b32 v15, v18, v7
	s_wait_dscnt 0x2
	v_add_f64_e32 v[4:5], v[4:5], v[12:13]
	s_wait_dscnt 0x0
	v_add_f64_e32 v[6:7], v[6:7], v[14:15]
	ds_bpermute_b32 v12, v19, v4
	ds_bpermute_b32 v13, v19, v5
	ds_bpermute_b32 v14, v19, v6
	ds_bpermute_b32 v15, v19, v7
	s_wait_dscnt 0x2
	v_add_f64_e32 v[4:5], v[4:5], v[12:13]
	s_wait_dscnt 0x0
	;; [unrolled: 8-line block ×3, first 2 shown]
	v_add_f64_e32 v[12:13], v[6:7], v[14:15]
	ds_bpermute_b32 v6, v21, v4
	ds_bpermute_b32 v7, v21, v5
	;; [unrolled: 1-line block ×4, first 2 shown]
	s_and_saveexec_b32 s4, s2
	s_cbranch_execz .LBB91_9
; %bb.8:                                ;   in Loop: Header=BB91_3 Depth=1
	s_wait_dscnt 0x0
	v_add_f64_e32 v[14:15], v[12:13], v[14:15]
	v_add_f64_e32 v[12:13], v[4:5], v[6:7]
	ds_store_b128 v17, v[12:15]
.LBB91_9:                               ;   in Loop: Header=BB91_3 Depth=1
	s_or_b32 exec_lo, exec_lo, s4
	s_wait_dscnt 0x2
	v_mov_b64_e32 v[6:7], 0
	v_mov_b64_e32 v[4:5], 0
	s_wait_dscnt 0x0
	s_barrier_signal -1
	s_barrier_wait -1
	s_and_saveexec_b32 s4, s1
	s_cbranch_execnz .LBB91_17
; %bb.10:                               ;   in Loop: Header=BB91_3 Depth=1
	s_or_b32 exec_lo, exec_lo, s4
	s_and_saveexec_b32 s4, s0
	s_cbranch_execnz .LBB91_18
.LBB91_11:                              ;   in Loop: Header=BB91_3 Depth=1
	s_or_b32 exec_lo, exec_lo, s4
	s_and_saveexec_b32 s4, vcc_lo
	s_cbranch_execz .LBB91_2
	s_branch .LBB91_19
.LBB91_12:                              ;   in Loop: Header=BB91_3 Depth=1
	s_wait_loadcnt 0x0
	v_add_nc_u64_e32 v[6:7], s[10:11], v[4:5]
	s_delay_alu instid0(VALU_DEP_1)
	v_add_nc_u64_e32 v[6:7], s[22:23], v[6:7]
	flat_load_b128 v[22:25], v[6:7]
	s_wait_loadcnt_dscnt 0x0
	v_add_f64_e32 v[12:13], 0, v[22:23]
	s_wait_xcnt 0x0
	v_add_f64_e32 v[6:7], 0, v[24:25]
	s_or_b32 exec_lo, exec_lo, s4
	s_and_saveexec_b32 s5, s3
	s_cbranch_execz .LBB91_5
.LBB91_13:                              ;   in Loop: Header=BB91_3 Depth=1
	s_wait_loadcnt 0x0
	v_add_nc_u64_e32 v[4:5], v[4:5], v[10:11]
	v_add_nc_u64_e32 v[14:15], v[14:15], v[8:9]
	v_mov_b32_e32 v3, v0
	s_mov_b32 s19, 0
	s_branch .LBB91_15
.LBB91_14:                              ;   in Loop: Header=BB91_15 Depth=2
	s_wait_xcnt 0x0
	s_or_b32 exec_lo, exec_lo, s26
	v_add_nc_u32_e32 v3, 0x200, v3
	v_add_nc_u64_e32 v[4:5], s[20:21], v[4:5]
	v_add_nc_u64_e32 v[14:15], 0x2000, v[14:15]
	s_delay_alu instid0(VALU_DEP_3) | instskip(SKIP_1) | instid1(SALU_CYCLE_1)
	v_cmp_le_i32_e64 s4, s25, v3
	s_or_b32 s19, s4, s19
	s_and_not1_b32 exec_lo, exec_lo, s19
	s_cbranch_execz .LBB91_20
.LBB91_15:                              ;   Parent Loop BB91_3 Depth=1
                                        ; =>  This Inner Loop Header: Depth=2
	s_mov_b32 s26, exec_lo
	s_delay_alu instid0(VALU_DEP_1)
	v_cmpx_lt_i32_e64 s18, v3
	s_cbranch_execz .LBB91_14
; %bb.16:                               ;   in Loop: Header=BB91_15 Depth=2
	flat_load_b128 v[22:25], v[14:15] offset:-8
	flat_load_b128 v[26:29], v[4:5] offset:-8
	s_wait_loadcnt_dscnt 0x0
	v_mul_f64_e32 v[30:31], v[24:25], v[28:29]
	v_mul_f64_e32 v[28:29], v[22:23], v[28:29]
	s_delay_alu instid0(VALU_DEP_2) | instskip(NEXT) | instid1(VALU_DEP_2)
	v_fma_f64 v[22:23], v[22:23], v[26:27], -v[30:31]
	v_fmac_f64_e32 v[28:29], v[24:25], v[26:27]
	s_delay_alu instid0(VALU_DEP_2) | instskip(NEXT) | instid1(VALU_DEP_2)
	v_add_f64_e32 v[12:13], v[12:13], v[22:23]
	v_add_f64_e32 v[6:7], v[6:7], v[28:29]
	s_branch .LBB91_14
.LBB91_17:                              ;   in Loop: Header=BB91_3 Depth=1
	ds_load_b128 v[4:7], v1
	s_or_b32 exec_lo, exec_lo, s4
	s_and_saveexec_b32 s4, s0
	s_cbranch_execz .LBB91_11
.LBB91_18:                              ;   in Loop: Header=BB91_3 Depth=1
	s_wait_dscnt 0x0
	ds_bpermute_b32 v12, v18, v4
	ds_bpermute_b32 v13, v18, v5
	ds_bpermute_b32 v14, v18, v6
	ds_bpermute_b32 v15, v18, v7
	s_wait_dscnt 0x2
	v_add_f64_e32 v[4:5], v[4:5], v[12:13]
	s_wait_dscnt 0x0
	v_add_f64_e32 v[6:7], v[6:7], v[14:15]
	ds_bpermute_b32 v12, v19, v4
	ds_bpermute_b32 v13, v19, v5
	ds_bpermute_b32 v14, v19, v6
	ds_bpermute_b32 v15, v19, v7
	s_wait_dscnt 0x2
	v_add_f64_e32 v[4:5], v[4:5], v[12:13]
	s_wait_dscnt 0x0
	v_add_f64_e32 v[6:7], v[6:7], v[14:15]
	;; [unrolled: 8-line block ×4, first 2 shown]
	s_or_b32 exec_lo, exec_lo, s4
	s_and_saveexec_b32 s4, vcc_lo
	s_cbranch_execz .LBB91_2
.LBB91_19:                              ;   in Loop: Header=BB91_3 Depth=1
	s_mul_u64 s[26:27], s[6:7], s[16:17]
	s_delay_alu instid0(SALU_CYCLE_1) | instskip(NEXT) | instid1(SALU_CYCLE_1)
	s_lshl_b64 s[26:27], s[26:27], 4
	s_add_nc_u64 s[26:27], s[14:15], s[26:27]
	s_wait_dscnt 0x0
	global_store_b128 v2, v[4:7], s[26:27]
	s_branch .LBB91_2
.LBB91_20:                              ;   in Loop: Header=BB91_3 Depth=1
	s_or_b32 exec_lo, exec_lo, s19
	s_delay_alu instid0(SALU_CYCLE_1)
	s_or_b32 exec_lo, exec_lo, s5
	s_and_saveexec_b32 s4, s0
	s_cbranch_execnz .LBB91_6
	s_branch .LBB91_7
.LBB91_21:
	s_endpgm
	.section	.rodata,"a",@progbits
	.p2align	6, 0x0
	.amdhsa_kernel _ZL20rocblas_trmvt_kernelILi512ELb1ELb0ELb1EPKPK19rocblas_complex_numIdEPKPS1_S6_EviT3_lllT4_lllT5_li
		.amdhsa_group_segment_fixed_size 512
		.amdhsa_private_segment_fixed_size 0
		.amdhsa_kernarg_size 92
		.amdhsa_user_sgpr_count 2
		.amdhsa_user_sgpr_dispatch_ptr 0
		.amdhsa_user_sgpr_queue_ptr 0
		.amdhsa_user_sgpr_kernarg_segment_ptr 1
		.amdhsa_user_sgpr_dispatch_id 0
		.amdhsa_user_sgpr_kernarg_preload_length 0
		.amdhsa_user_sgpr_kernarg_preload_offset 0
		.amdhsa_user_sgpr_private_segment_size 0
		.amdhsa_wavefront_size32 1
		.amdhsa_uses_dynamic_stack 0
		.amdhsa_enable_private_segment 0
		.amdhsa_system_sgpr_workgroup_id_x 1
		.amdhsa_system_sgpr_workgroup_id_y 0
		.amdhsa_system_sgpr_workgroup_id_z 1
		.amdhsa_system_sgpr_workgroup_info 0
		.amdhsa_system_vgpr_workitem_id 0
		.amdhsa_next_free_vgpr 32
		.amdhsa_next_free_sgpr 28
		.amdhsa_named_barrier_count 0
		.amdhsa_reserve_vcc 1
		.amdhsa_float_round_mode_32 0
		.amdhsa_float_round_mode_16_64 0
		.amdhsa_float_denorm_mode_32 3
		.amdhsa_float_denorm_mode_16_64 3
		.amdhsa_fp16_overflow 0
		.amdhsa_memory_ordered 1
		.amdhsa_forward_progress 1
		.amdhsa_inst_pref_size 12
		.amdhsa_round_robin_scheduling 0
		.amdhsa_exception_fp_ieee_invalid_op 0
		.amdhsa_exception_fp_denorm_src 0
		.amdhsa_exception_fp_ieee_div_zero 0
		.amdhsa_exception_fp_ieee_overflow 0
		.amdhsa_exception_fp_ieee_underflow 0
		.amdhsa_exception_fp_ieee_inexact 0
		.amdhsa_exception_int_div_zero 0
	.end_amdhsa_kernel
	.section	.text._ZL20rocblas_trmvt_kernelILi512ELb1ELb0ELb1EPKPK19rocblas_complex_numIdEPKPS1_S6_EviT3_lllT4_lllT5_li,"axG",@progbits,_ZL20rocblas_trmvt_kernelILi512ELb1ELb0ELb1EPKPK19rocblas_complex_numIdEPKPS1_S6_EviT3_lllT4_lllT5_li,comdat
.Lfunc_end91:
	.size	_ZL20rocblas_trmvt_kernelILi512ELb1ELb0ELb1EPKPK19rocblas_complex_numIdEPKPS1_S6_EviT3_lllT4_lllT5_li, .Lfunc_end91-_ZL20rocblas_trmvt_kernelILi512ELb1ELb0ELb1EPKPK19rocblas_complex_numIdEPKPS1_S6_EviT3_lllT4_lllT5_li
                                        ; -- End function
	.set _ZL20rocblas_trmvt_kernelILi512ELb1ELb0ELb1EPKPK19rocblas_complex_numIdEPKPS1_S6_EviT3_lllT4_lllT5_li.num_vgpr, 32
	.set _ZL20rocblas_trmvt_kernelILi512ELb1ELb0ELb1EPKPK19rocblas_complex_numIdEPKPS1_S6_EviT3_lllT4_lllT5_li.num_agpr, 0
	.set _ZL20rocblas_trmvt_kernelILi512ELb1ELb0ELb1EPKPK19rocblas_complex_numIdEPKPS1_S6_EviT3_lllT4_lllT5_li.numbered_sgpr, 28
	.set _ZL20rocblas_trmvt_kernelILi512ELb1ELb0ELb1EPKPK19rocblas_complex_numIdEPKPS1_S6_EviT3_lllT4_lllT5_li.num_named_barrier, 0
	.set _ZL20rocblas_trmvt_kernelILi512ELb1ELb0ELb1EPKPK19rocblas_complex_numIdEPKPS1_S6_EviT3_lllT4_lllT5_li.private_seg_size, 0
	.set _ZL20rocblas_trmvt_kernelILi512ELb1ELb0ELb1EPKPK19rocblas_complex_numIdEPKPS1_S6_EviT3_lllT4_lllT5_li.uses_vcc, 1
	.set _ZL20rocblas_trmvt_kernelILi512ELb1ELb0ELb1EPKPK19rocblas_complex_numIdEPKPS1_S6_EviT3_lllT4_lllT5_li.uses_flat_scratch, 0
	.set _ZL20rocblas_trmvt_kernelILi512ELb1ELb0ELb1EPKPK19rocblas_complex_numIdEPKPS1_S6_EviT3_lllT4_lllT5_li.has_dyn_sized_stack, 0
	.set _ZL20rocblas_trmvt_kernelILi512ELb1ELb0ELb1EPKPK19rocblas_complex_numIdEPKPS1_S6_EviT3_lllT4_lllT5_li.has_recursion, 0
	.set _ZL20rocblas_trmvt_kernelILi512ELb1ELb0ELb1EPKPK19rocblas_complex_numIdEPKPS1_S6_EviT3_lllT4_lllT5_li.has_indirect_call, 0
	.section	.AMDGPU.csdata,"",@progbits
; Kernel info:
; codeLenInByte = 1420
; TotalNumSgprs: 30
; NumVgprs: 32
; ScratchSize: 0
; MemoryBound: 0
; FloatMode: 240
; IeeeMode: 1
; LDSByteSize: 512 bytes/workgroup (compile time only)
; SGPRBlocks: 0
; VGPRBlocks: 1
; NumSGPRsForWavesPerEU: 30
; NumVGPRsForWavesPerEU: 32
; NamedBarCnt: 0
; Occupancy: 16
; WaveLimiterHint : 1
; COMPUTE_PGM_RSRC2:SCRATCH_EN: 0
; COMPUTE_PGM_RSRC2:USER_SGPR: 2
; COMPUTE_PGM_RSRC2:TRAP_HANDLER: 0
; COMPUTE_PGM_RSRC2:TGID_X_EN: 1
; COMPUTE_PGM_RSRC2:TGID_Y_EN: 0
; COMPUTE_PGM_RSRC2:TGID_Z_EN: 1
; COMPUTE_PGM_RSRC2:TIDIG_COMP_CNT: 0
	.section	.text._ZL20rocblas_trmvt_kernelILi512ELb1ELb1ELb1EPKPK19rocblas_complex_numIdEPKPS1_S6_EviT3_lllT4_lllT5_li,"axG",@progbits,_ZL20rocblas_trmvt_kernelILi512ELb1ELb1ELb1EPKPK19rocblas_complex_numIdEPKPS1_S6_EviT3_lllT4_lllT5_li,comdat
	.globl	_ZL20rocblas_trmvt_kernelILi512ELb1ELb1ELb1EPKPK19rocblas_complex_numIdEPKPS1_S6_EviT3_lllT4_lllT5_li ; -- Begin function _ZL20rocblas_trmvt_kernelILi512ELb1ELb1ELb1EPKPK19rocblas_complex_numIdEPKPS1_S6_EviT3_lllT4_lllT5_li
	.p2align	8
	.type	_ZL20rocblas_trmvt_kernelILi512ELb1ELb1ELb1EPKPK19rocblas_complex_numIdEPKPS1_S6_EviT3_lllT4_lllT5_li,@function
_ZL20rocblas_trmvt_kernelILi512ELb1ELb1ELb1EPKPK19rocblas_complex_numIdEPKPS1_S6_EviT3_lllT4_lllT5_li: ; @_ZL20rocblas_trmvt_kernelILi512ELb1ELb1ELb1EPKPK19rocblas_complex_numIdEPKPS1_S6_EviT3_lllT4_lllT5_li
; %bb.0:
	s_load_b32 s24, s[0:1], 0x58
	s_bfe_u32 s2, ttmp6, 0x40014
	s_lshr_b32 s4, ttmp7, 16
	s_add_co_i32 s2, s2, 1
	s_bfe_u32 s5, ttmp6, 0x40008
	s_mul_i32 s2, s4, s2
	s_getreg_b32 s3, hwreg(HW_REG_IB_STS2, 6, 4)
	s_add_co_i32 s5, s5, s2
	s_cmp_eq_u32 s3, 0
	s_mov_b32 s17, 0
	s_cselect_b32 s16, s4, s5
	s_wait_kmcnt 0x0
	s_cmp_ge_u32 s16, s24
	s_cbranch_scc1 .LBB92_21
; %bb.1:
	s_clause 0x5
	s_load_b64 s[20:21], s[0:1], 0x38
	s_load_b32 s25, s[0:1], 0x0
	s_load_b128 s[8:11], s[0:1], 0x8
	s_load_b64 s[22:23], s[0:1], 0x18
	s_load_b128 s[12:15], s[0:1], 0x28
	s_load_b128 s[4:7], s[0:1], 0x48
	v_dual_mov_b32 v2, 0 :: v_dual_bitop2_b32 v3, 31, v0 bitop3:0x40
	v_mbcnt_lo_u32_b32 v12, -1, 0
	s_wait_xcnt 0x0
	s_bfe_u32 s1, ttmp6, 0x4000c
	s_delay_alu instid0(VALU_DEP_2)
	v_dual_mov_b32 v1, v2 :: v_dual_lshrrev_b32 v6, 1, v0
	s_add_co_i32 s2, s1, 1
	s_and_b32 s18, ttmp6, 15
	s_mul_i32 s19, ttmp9, s2
	v_cmp_gt_u32_e64 s2, 24, v12
	s_add_co_i32 s18, s18, s19
	s_cmp_eq_u32 s3, 0
	v_and_b32_e32 v17, 0xf0, v6
	s_cselect_b32 s18, ttmp9, s18
	s_wait_kmcnt 0x0
	v_mul_u64_e32 v[4:5], s[20:21], v[0:1]
	v_cndmask_b32_e64 v8, 0, 8, s2
	v_cmp_gt_u32_e64 s2, 28, v12
	v_cmp_gt_i32_e64 s3, s25, v0
	s_ashr_i32 s19, s18, 31
	v_dual_lshlrev_b32 v1, 4, v3 :: v_dual_mov_b32 v7, v2
	v_cndmask_b32_e64 v9, 0, 4, s2
	v_cmp_gt_u32_e64 s2, 30, v12
	s_mul_u64 s[22:23], s[22:23], s[18:19]
	s_lshl_b64 s[10:11], s[10:11], 4
	s_lshl_b64 s[22:23], s[22:23], 4
	v_add_lshl_u32 v18, v8, v12, 2
	v_cndmask_b32_e64 v13, 0, 2, s2
	v_cmp_ne_u32_e64 s2, 31, v12
	s_add_nc_u64 s[22:23], s[22:23], s[10:11]
	s_lshl_b64 s[10:11], s[14:15], 4
	v_add_lshl_u32 v19, v9, v12, 2
	v_cmp_gt_u32_e64 s0, 32, v0
	v_add_co_ci_u32_e64 v14, null, 0, v12, s2
	v_cmp_eq_u32_e64 s2, 0, v3
	v_cndmask_b32_e64 v3, 0, v0, s3
	v_cmp_gt_u32_e64 s1, 16, v0
	s_delay_alu instid0(VALU_DEP_4)
	v_lshlrev_b32_e32 v21, 2, v14
	v_lshl_or_b32 v16, v12, 2, 64
	v_add_lshl_u32 v20, v13, v12, 2
	s_lshl_b64 s[14:15], s[18:19], 4
	v_cmp_eq_u32_e32 vcc_lo, 0, v0
	s_add_nc_u64 s[14:15], s[4:5], s[14:15]
	v_lshl_add_u64 v[10:11], v[4:5], 4, s[10:11]
	s_delay_alu instid0(VALU_DEP_1) | instskip(NEXT) | instid1(VALU_DEP_1)
	v_dual_lshlrev_b32 v6, 4, v3 :: v_dual_bitop2_b32 v10, 8, v10 bitop3:0x54
	v_add_nc_u64_e32 v[8:9], s[22:23], v[6:7]
	s_mul_u64 s[22:23], s[20:21], s[18:19]
	s_lshl_b64 s[20:21], s[20:21], 13
	s_lshl_b64 s[22:23], s[22:23], 4
	s_delay_alu instid0(VALU_DEP_1)
	v_or_b32_e32 v8, 8, v8
	s_branch .LBB92_3
.LBB92_2:                               ;   in Loop: Header=BB92_3 Depth=1
	s_wait_xcnt 0x0
	s_or_b32 exec_lo, exec_lo, s4
	s_add_co_i32 s16, s16, 0x10000
	s_delay_alu instid0(SALU_CYCLE_1)
	s_cmp_lt_u32 s16, s24
	s_cbranch_scc0 .LBB92_21
.LBB92_3:                               ; =>This Loop Header: Depth=1
                                        ;     Child Loop BB92_15 Depth 2
	v_mov_b32_e32 v3, s16
	v_mov_b64_e32 v[12:13], 0
	s_wait_dscnt 0x0
	v_mov_b64_e32 v[6:7], 0
	s_clause 0x1
	global_load_b64 v[14:15], v3, s[8:9] scale_offset
	global_load_b64 v[4:5], v3, s[12:13] scale_offset
	s_wait_xcnt 0x0
	s_and_saveexec_b32 s4, vcc_lo
	s_cbranch_execnz .LBB92_12
; %bb.4:                                ;   in Loop: Header=BB92_3 Depth=1
	s_or_b32 exec_lo, exec_lo, s4
	s_and_saveexec_b32 s5, s3
	s_cbranch_execnz .LBB92_13
.LBB92_5:                               ;   in Loop: Header=BB92_3 Depth=1
	s_or_b32 exec_lo, exec_lo, s5
	s_and_saveexec_b32 s4, s0
	s_cbranch_execz .LBB92_7
.LBB92_6:                               ;   in Loop: Header=BB92_3 Depth=1
	s_wait_loadcnt 0x0
	v_dual_mov_b32 v3, v2 :: v_dual_mov_b32 v4, v2
	v_mov_b32_e32 v5, v2
	ds_store_b128 v1, v[2:5]
.LBB92_7:                               ;   in Loop: Header=BB92_3 Depth=1
	s_or_b32 exec_lo, exec_lo, s4
	s_wait_loadcnt 0x0
	ds_bpermute_b32 v4, v16, v12
	ds_bpermute_b32 v5, v16, v13
	;; [unrolled: 1-line block ×4, first 2 shown]
	s_wait_dscnt 0x0
	s_barrier_signal -1
	s_barrier_wait -1
	v_add_f64_e32 v[4:5], v[12:13], v[4:5]
	v_add_f64_e32 v[6:7], v[6:7], v[14:15]
	ds_bpermute_b32 v12, v18, v4
	ds_bpermute_b32 v13, v18, v5
	ds_bpermute_b32 v14, v18, v6
	ds_bpermute_b32 v15, v18, v7
	s_wait_dscnt 0x2
	v_add_f64_e32 v[4:5], v[4:5], v[12:13]
	s_wait_dscnt 0x0
	v_add_f64_e32 v[6:7], v[6:7], v[14:15]
	ds_bpermute_b32 v12, v19, v4
	ds_bpermute_b32 v13, v19, v5
	ds_bpermute_b32 v14, v19, v6
	ds_bpermute_b32 v15, v19, v7
	s_wait_dscnt 0x2
	v_add_f64_e32 v[4:5], v[4:5], v[12:13]
	s_wait_dscnt 0x0
	v_add_f64_e32 v[6:7], v[6:7], v[14:15]
	ds_bpermute_b32 v12, v20, v4
	ds_bpermute_b32 v13, v20, v5
	ds_bpermute_b32 v14, v20, v6
	ds_bpermute_b32 v15, v20, v7
	s_wait_dscnt 0x2
	v_add_f64_e32 v[4:5], v[4:5], v[12:13]
	s_wait_dscnt 0x0
	v_add_f64_e32 v[12:13], v[6:7], v[14:15]
	ds_bpermute_b32 v6, v21, v4
	ds_bpermute_b32 v7, v21, v5
	;; [unrolled: 1-line block ×4, first 2 shown]
	s_and_saveexec_b32 s4, s2
	s_cbranch_execz .LBB92_9
; %bb.8:                                ;   in Loop: Header=BB92_3 Depth=1
	s_wait_dscnt 0x0
	v_add_f64_e32 v[14:15], v[12:13], v[14:15]
	v_add_f64_e32 v[12:13], v[4:5], v[6:7]
	ds_store_b128 v17, v[12:15]
.LBB92_9:                               ;   in Loop: Header=BB92_3 Depth=1
	s_or_b32 exec_lo, exec_lo, s4
	s_wait_dscnt 0x2
	v_mov_b64_e32 v[6:7], 0
	v_mov_b64_e32 v[4:5], 0
	s_wait_dscnt 0x0
	s_barrier_signal -1
	s_barrier_wait -1
	s_and_saveexec_b32 s4, s1
	s_cbranch_execnz .LBB92_17
; %bb.10:                               ;   in Loop: Header=BB92_3 Depth=1
	s_or_b32 exec_lo, exec_lo, s4
	s_and_saveexec_b32 s4, s0
	s_cbranch_execnz .LBB92_18
.LBB92_11:                              ;   in Loop: Header=BB92_3 Depth=1
	s_or_b32 exec_lo, exec_lo, s4
	s_and_saveexec_b32 s4, vcc_lo
	s_cbranch_execz .LBB92_2
	s_branch .LBB92_19
.LBB92_12:                              ;   in Loop: Header=BB92_3 Depth=1
	s_wait_loadcnt 0x0
	v_add_nc_u64_e32 v[6:7], s[10:11], v[4:5]
	s_delay_alu instid0(VALU_DEP_1)
	v_add_nc_u64_e32 v[6:7], s[22:23], v[6:7]
	flat_load_b128 v[22:25], v[6:7]
	s_wait_loadcnt_dscnt 0x0
	v_add_f64_e32 v[12:13], 0, v[22:23]
	s_wait_xcnt 0x0
	v_add_f64_e32 v[6:7], 0, v[24:25]
	s_or_b32 exec_lo, exec_lo, s4
	s_and_saveexec_b32 s5, s3
	s_cbranch_execz .LBB92_5
.LBB92_13:                              ;   in Loop: Header=BB92_3 Depth=1
	s_wait_loadcnt 0x0
	v_add_nc_u64_e32 v[4:5], v[4:5], v[10:11]
	v_add_nc_u64_e32 v[14:15], v[14:15], v[8:9]
	v_mov_b32_e32 v3, v0
	s_mov_b32 s19, 0
	s_branch .LBB92_15
.LBB92_14:                              ;   in Loop: Header=BB92_15 Depth=2
	s_wait_xcnt 0x0
	s_or_b32 exec_lo, exec_lo, s26
	v_add_nc_u32_e32 v3, 0x200, v3
	v_add_nc_u64_e32 v[4:5], s[20:21], v[4:5]
	v_add_nc_u64_e32 v[14:15], 0x2000, v[14:15]
	s_delay_alu instid0(VALU_DEP_3) | instskip(SKIP_1) | instid1(SALU_CYCLE_1)
	v_cmp_le_i32_e64 s4, s25, v3
	s_or_b32 s19, s4, s19
	s_and_not1_b32 exec_lo, exec_lo, s19
	s_cbranch_execz .LBB92_20
.LBB92_15:                              ;   Parent Loop BB92_3 Depth=1
                                        ; =>  This Inner Loop Header: Depth=2
	s_mov_b32 s26, exec_lo
	s_delay_alu instid0(VALU_DEP_1)
	v_cmpx_lt_i32_e64 s18, v3
	s_cbranch_execz .LBB92_14
; %bb.16:                               ;   in Loop: Header=BB92_15 Depth=2
	flat_load_b128 v[22:25], v[14:15] offset:-8
	flat_load_b128 v[26:29], v[4:5] offset:-8
	s_wait_loadcnt_dscnt 0x0
	v_mul_f64_e32 v[30:31], v[24:25], v[28:29]
	v_mul_f64_e32 v[24:25], v[24:25], v[26:27]
	s_delay_alu instid0(VALU_DEP_2) | instskip(NEXT) | instid1(VALU_DEP_2)
	v_fmac_f64_e32 v[30:31], v[22:23], v[26:27]
	v_fma_f64 v[22:23], v[22:23], v[28:29], -v[24:25]
	s_delay_alu instid0(VALU_DEP_2) | instskip(NEXT) | instid1(VALU_DEP_2)
	v_add_f64_e32 v[12:13], v[12:13], v[30:31]
	v_add_f64_e32 v[6:7], v[6:7], v[22:23]
	s_branch .LBB92_14
.LBB92_17:                              ;   in Loop: Header=BB92_3 Depth=1
	ds_load_b128 v[4:7], v1
	s_or_b32 exec_lo, exec_lo, s4
	s_and_saveexec_b32 s4, s0
	s_cbranch_execz .LBB92_11
.LBB92_18:                              ;   in Loop: Header=BB92_3 Depth=1
	s_wait_dscnt 0x0
	ds_bpermute_b32 v12, v18, v4
	ds_bpermute_b32 v13, v18, v5
	ds_bpermute_b32 v14, v18, v6
	ds_bpermute_b32 v15, v18, v7
	s_wait_dscnt 0x2
	v_add_f64_e32 v[4:5], v[4:5], v[12:13]
	s_wait_dscnt 0x0
	v_add_f64_e32 v[6:7], v[6:7], v[14:15]
	ds_bpermute_b32 v12, v19, v4
	ds_bpermute_b32 v13, v19, v5
	ds_bpermute_b32 v14, v19, v6
	ds_bpermute_b32 v15, v19, v7
	s_wait_dscnt 0x2
	v_add_f64_e32 v[4:5], v[4:5], v[12:13]
	s_wait_dscnt 0x0
	v_add_f64_e32 v[6:7], v[6:7], v[14:15]
	;; [unrolled: 8-line block ×4, first 2 shown]
	s_or_b32 exec_lo, exec_lo, s4
	s_and_saveexec_b32 s4, vcc_lo
	s_cbranch_execz .LBB92_2
.LBB92_19:                              ;   in Loop: Header=BB92_3 Depth=1
	s_mul_u64 s[26:27], s[6:7], s[16:17]
	s_delay_alu instid0(SALU_CYCLE_1) | instskip(NEXT) | instid1(SALU_CYCLE_1)
	s_lshl_b64 s[26:27], s[26:27], 4
	s_add_nc_u64 s[26:27], s[14:15], s[26:27]
	s_wait_dscnt 0x0
	global_store_b128 v2, v[4:7], s[26:27]
	s_branch .LBB92_2
.LBB92_20:                              ;   in Loop: Header=BB92_3 Depth=1
	s_or_b32 exec_lo, exec_lo, s19
	s_delay_alu instid0(SALU_CYCLE_1)
	s_or_b32 exec_lo, exec_lo, s5
	s_and_saveexec_b32 s4, s0
	s_cbranch_execnz .LBB92_6
	s_branch .LBB92_7
.LBB92_21:
	s_endpgm
	.section	.rodata,"a",@progbits
	.p2align	6, 0x0
	.amdhsa_kernel _ZL20rocblas_trmvt_kernelILi512ELb1ELb1ELb1EPKPK19rocblas_complex_numIdEPKPS1_S6_EviT3_lllT4_lllT5_li
		.amdhsa_group_segment_fixed_size 512
		.amdhsa_private_segment_fixed_size 0
		.amdhsa_kernarg_size 92
		.amdhsa_user_sgpr_count 2
		.amdhsa_user_sgpr_dispatch_ptr 0
		.amdhsa_user_sgpr_queue_ptr 0
		.amdhsa_user_sgpr_kernarg_segment_ptr 1
		.amdhsa_user_sgpr_dispatch_id 0
		.amdhsa_user_sgpr_kernarg_preload_length 0
		.amdhsa_user_sgpr_kernarg_preload_offset 0
		.amdhsa_user_sgpr_private_segment_size 0
		.amdhsa_wavefront_size32 1
		.amdhsa_uses_dynamic_stack 0
		.amdhsa_enable_private_segment 0
		.amdhsa_system_sgpr_workgroup_id_x 1
		.amdhsa_system_sgpr_workgroup_id_y 0
		.amdhsa_system_sgpr_workgroup_id_z 1
		.amdhsa_system_sgpr_workgroup_info 0
		.amdhsa_system_vgpr_workitem_id 0
		.amdhsa_next_free_vgpr 32
		.amdhsa_next_free_sgpr 28
		.amdhsa_named_barrier_count 0
		.amdhsa_reserve_vcc 1
		.amdhsa_float_round_mode_32 0
		.amdhsa_float_round_mode_16_64 0
		.amdhsa_float_denorm_mode_32 3
		.amdhsa_float_denorm_mode_16_64 3
		.amdhsa_fp16_overflow 0
		.amdhsa_memory_ordered 1
		.amdhsa_forward_progress 1
		.amdhsa_inst_pref_size 12
		.amdhsa_round_robin_scheduling 0
		.amdhsa_exception_fp_ieee_invalid_op 0
		.amdhsa_exception_fp_denorm_src 0
		.amdhsa_exception_fp_ieee_div_zero 0
		.amdhsa_exception_fp_ieee_overflow 0
		.amdhsa_exception_fp_ieee_underflow 0
		.amdhsa_exception_fp_ieee_inexact 0
		.amdhsa_exception_int_div_zero 0
	.end_amdhsa_kernel
	.section	.text._ZL20rocblas_trmvt_kernelILi512ELb1ELb1ELb1EPKPK19rocblas_complex_numIdEPKPS1_S6_EviT3_lllT4_lllT5_li,"axG",@progbits,_ZL20rocblas_trmvt_kernelILi512ELb1ELb1ELb1EPKPK19rocblas_complex_numIdEPKPS1_S6_EviT3_lllT4_lllT5_li,comdat
.Lfunc_end92:
	.size	_ZL20rocblas_trmvt_kernelILi512ELb1ELb1ELb1EPKPK19rocblas_complex_numIdEPKPS1_S6_EviT3_lllT4_lllT5_li, .Lfunc_end92-_ZL20rocblas_trmvt_kernelILi512ELb1ELb1ELb1EPKPK19rocblas_complex_numIdEPKPS1_S6_EviT3_lllT4_lllT5_li
                                        ; -- End function
	.set _ZL20rocblas_trmvt_kernelILi512ELb1ELb1ELb1EPKPK19rocblas_complex_numIdEPKPS1_S6_EviT3_lllT4_lllT5_li.num_vgpr, 32
	.set _ZL20rocblas_trmvt_kernelILi512ELb1ELb1ELb1EPKPK19rocblas_complex_numIdEPKPS1_S6_EviT3_lllT4_lllT5_li.num_agpr, 0
	.set _ZL20rocblas_trmvt_kernelILi512ELb1ELb1ELb1EPKPK19rocblas_complex_numIdEPKPS1_S6_EviT3_lllT4_lllT5_li.numbered_sgpr, 28
	.set _ZL20rocblas_trmvt_kernelILi512ELb1ELb1ELb1EPKPK19rocblas_complex_numIdEPKPS1_S6_EviT3_lllT4_lllT5_li.num_named_barrier, 0
	.set _ZL20rocblas_trmvt_kernelILi512ELb1ELb1ELb1EPKPK19rocblas_complex_numIdEPKPS1_S6_EviT3_lllT4_lllT5_li.private_seg_size, 0
	.set _ZL20rocblas_trmvt_kernelILi512ELb1ELb1ELb1EPKPK19rocblas_complex_numIdEPKPS1_S6_EviT3_lllT4_lllT5_li.uses_vcc, 1
	.set _ZL20rocblas_trmvt_kernelILi512ELb1ELb1ELb1EPKPK19rocblas_complex_numIdEPKPS1_S6_EviT3_lllT4_lllT5_li.uses_flat_scratch, 0
	.set _ZL20rocblas_trmvt_kernelILi512ELb1ELb1ELb1EPKPK19rocblas_complex_numIdEPKPS1_S6_EviT3_lllT4_lllT5_li.has_dyn_sized_stack, 0
	.set _ZL20rocblas_trmvt_kernelILi512ELb1ELb1ELb1EPKPK19rocblas_complex_numIdEPKPS1_S6_EviT3_lllT4_lllT5_li.has_recursion, 0
	.set _ZL20rocblas_trmvt_kernelILi512ELb1ELb1ELb1EPKPK19rocblas_complex_numIdEPKPS1_S6_EviT3_lllT4_lllT5_li.has_indirect_call, 0
	.section	.AMDGPU.csdata,"",@progbits
; Kernel info:
; codeLenInByte = 1420
; TotalNumSgprs: 30
; NumVgprs: 32
; ScratchSize: 0
; MemoryBound: 0
; FloatMode: 240
; IeeeMode: 1
; LDSByteSize: 512 bytes/workgroup (compile time only)
; SGPRBlocks: 0
; VGPRBlocks: 1
; NumSGPRsForWavesPerEU: 30
; NumVGPRsForWavesPerEU: 32
; NamedBarCnt: 0
; Occupancy: 16
; WaveLimiterHint : 1
; COMPUTE_PGM_RSRC2:SCRATCH_EN: 0
; COMPUTE_PGM_RSRC2:USER_SGPR: 2
; COMPUTE_PGM_RSRC2:TRAP_HANDLER: 0
; COMPUTE_PGM_RSRC2:TGID_X_EN: 1
; COMPUTE_PGM_RSRC2:TGID_Y_EN: 0
; COMPUTE_PGM_RSRC2:TGID_Z_EN: 1
; COMPUTE_PGM_RSRC2:TIDIG_COMP_CNT: 0
	.section	.text._ZL20rocblas_trmvn_kernelILi64ELi16ELb1ELb0EPKPK19rocblas_complex_numIdEPKPS1_S6_EviT3_lllT4_lllT5_li,"axG",@progbits,_ZL20rocblas_trmvn_kernelILi64ELi16ELb1ELb0EPKPK19rocblas_complex_numIdEPKPS1_S6_EviT3_lllT4_lllT5_li,comdat
	.globl	_ZL20rocblas_trmvn_kernelILi64ELi16ELb1ELb0EPKPK19rocblas_complex_numIdEPKPS1_S6_EviT3_lllT4_lllT5_li ; -- Begin function _ZL20rocblas_trmvn_kernelILi64ELi16ELb1ELb0EPKPK19rocblas_complex_numIdEPKPS1_S6_EviT3_lllT4_lllT5_li
	.p2align	8
	.type	_ZL20rocblas_trmvn_kernelILi64ELi16ELb1ELb0EPKPK19rocblas_complex_numIdEPKPS1_S6_EviT3_lllT4_lllT5_li,@function
_ZL20rocblas_trmvn_kernelILi64ELi16ELb1ELb0EPKPK19rocblas_complex_numIdEPKPS1_S6_EviT3_lllT4_lllT5_li: ; @_ZL20rocblas_trmvn_kernelILi64ELi16ELb1ELb0EPKPK19rocblas_complex_numIdEPKPS1_S6_EviT3_lllT4_lllT5_li
; %bb.0:
	s_load_b32 s3, s[0:1], 0x58
	s_bfe_u32 s2, ttmp6, 0x40014
	s_lshr_b32 s4, ttmp7, 16
	s_add_co_i32 s2, s2, 1
	s_bfe_u32 s6, ttmp6, 0x40008
	s_mul_i32 s5, s4, s2
	s_getreg_b32 s2, hwreg(HW_REG_IB_STS2, 6, 4)
	s_add_co_i32 s6, s6, s5
	s_cmp_eq_u32 s2, 0
	s_mov_b32 s17, 0
	s_cselect_b32 s16, s4, s6
	s_wait_kmcnt 0x0
	s_cmp_ge_u32 s16, s3
	s_cbranch_scc1 .LBB93_14
; %bb.1:
	s_clause 0x3
	s_load_b64 s[18:19], s[0:1], 0x18
	s_load_b32 s8, s[0:1], 0x6c
	s_load_b64 s[22:23], s[0:1], 0x38
	s_load_b128 s[4:7], s[0:1], 0x28
	s_bfe_u32 s9, ttmp6, 0x4000c
	s_and_b32 s10, ttmp6, 15
	s_add_co_i32 s9, s9, 1
	v_and_b32_e32 v12, 0x3ff, v0
	s_mul_i32 s9, ttmp9, s9
	v_bfe_u32 v4, v0, 10, 10
	s_add_co_i32 s12, s10, s9
	s_load_b32 s20, s[0:1], 0x0
	s_delay_alu instid0(VALU_DEP_1)
	v_lshlrev_b32_e32 v19, 10, v4
	s_wait_kmcnt 0x0
	s_and_b32 s21, s8, 0xffff
	s_cmp_eq_u32 s2, 0
	s_load_b128 s[8:11], s[0:1], 0x48
	s_cselect_b32 s2, ttmp9, s12
	s_load_b128 s[12:15], s[0:1], 0x8
	v_lshl_add_u32 v6, s2, 6, v12
	v_mov_b32_e32 v5, 0
	s_lshl_b64 s[6:7], s[6:7], 4
	v_mul_u32_u24_e32 v20, s21, v4
	v_cmp_eq_u32_e64 s2, 0, v4
	v_ashrrev_i32_e32 v7, 31, v6
	v_mul_u64_e32 v[0:1], s[18:19], v[4:5]
	v_mul_u64_e32 v[2:3], s[22:23], v[4:5]
	s_wait_xcnt 0x0
	v_cmp_gt_i32_e64 s1, s20, v6
	v_cmp_gt_i32_e32 vcc_lo, s20, v4
	v_mad_nc_u64_u32 v[8:9], v6, s18, v[6:7]
	v_mul_u64_e32 v[10:11], s[22:23], v[6:7]
	v_lshlrev_b64_e32 v[16:17], 4, v[6:7]
	s_wait_kmcnt 0x0
	s_lshl_b64 s[14:15], s[14:15], 4
	s_delay_alu instid0(VALU_DEP_3) | instskip(SKIP_2) | instid1(VALU_DEP_1)
	v_mad_u32 v5, v7, s18, v9
	v_mad_u32_u24 v7, v4, s21, v12
	s_and_b32 s21, s2, s1
	v_cmp_gt_u32_e64 s0, 64, v7
	s_delay_alu instid0(VALU_DEP_3) | instskip(SKIP_4) | instid1(VALU_DEP_3)
	v_mad_u32 v9, v6, s19, v5
	s_lshl_b64 s[18:19], s[18:19], 8
	v_lshl_add_u64 v[0:1], v[0:1], 4, s[14:15]
	v_lshl_add_u64 v[14:15], v[2:3], 4, s[6:7]
	v_lshlrev_b32_e32 v18, 4, v12
	v_add_nc_u64_e32 v[12:13], v[0:1], v[16:17]
	v_add_nc_u64_e32 v[16:17], s[8:9], v[16:17]
	s_delay_alu instid0(VALU_DEP_4) | instskip(NEXT) | instid1(VALU_DEP_4)
	v_or_b32_e32 v14, 8, v14
	v_lshl_add_u32 v5, v20, 4, v18
	s_lshl_b64 s[8:9], s[22:23], 8
	s_delay_alu instid0(VALU_DEP_4)
	v_dual_add_nc_u32 v7, v18, v19 :: v_dual_bitop2_b32 v12, 8, v12 bitop3:0x54
	s_branch .LBB93_3
.LBB93_2:                               ;   in Loop: Header=BB93_3 Depth=1
	s_wait_xcnt 0x0
	s_or_b32 exec_lo, exec_lo, s2
	s_add_co_i32 s16, s16, 0x10000
	s_delay_alu instid0(SALU_CYCLE_1)
	s_cmp_lt_u32 s16, s3
	s_cbranch_scc0 .LBB93_14
.LBB93_3:                               ; =>This Loop Header: Depth=1
                                        ;     Child Loop BB93_8 Depth 2
	v_mov_b32_e32 v0, s16
	v_mov_b64_e32 v[2:3], 0
	s_clause 0x1
	global_load_b64 v[20:21], v0, s[12:13] scale_offset
	global_load_b64 v[18:19], v0, s[4:5] scale_offset
	s_wait_xcnt 0x0
	v_mov_b64_e32 v[0:1], 0
	s_and_saveexec_b32 s2, s21
	s_cbranch_execz .LBB93_5
; %bb.4:                                ;   in Loop: Header=BB93_3 Depth=1
	s_wait_loadcnt 0x0
	v_add_nc_u64_e32 v[0:1], s[6:7], v[18:19]
	v_add_nc_u64_e32 v[2:3], s[14:15], v[20:21]
	s_delay_alu instid0(VALU_DEP_2) | instskip(NEXT) | instid1(VALU_DEP_2)
	v_lshl_add_u64 v[0:1], v[10:11], 4, v[0:1]
	v_lshl_add_u64 v[2:3], v[8:9], 4, v[2:3]
	flat_load_b128 v[22:25], v[0:1]
	flat_load_b128 v[26:29], v[2:3]
	s_wait_loadcnt_dscnt 0x0
	s_wait_xcnt 0x1
	v_mul_f64_e32 v[0:1], v[24:25], v[28:29]
	s_wait_xcnt 0x0
	v_mul_f64_e32 v[2:3], v[22:23], v[28:29]
	s_delay_alu instid0(VALU_DEP_2) | instskip(NEXT) | instid1(VALU_DEP_2)
	v_fma_f64 v[0:1], v[22:23], v[26:27], -v[0:1]
	v_fmac_f64_e32 v[2:3], v[24:25], v[26:27]
.LBB93_5:                               ;   in Loop: Header=BB93_3 Depth=1
	s_or_b32 exec_lo, exec_lo, s2
	s_and_saveexec_b32 s22, vcc_lo
	s_cbranch_execz .LBB93_11
; %bb.6:                                ;   in Loop: Header=BB93_3 Depth=1
	s_wait_loadcnt 0x0
	v_add_nc_u64_e32 v[18:19], v[18:19], v[14:15]
	v_add_nc_u64_e32 v[20:21], v[20:21], v[12:13]
	v_mov_b32_e32 v22, v4
	s_mov_b32 s23, 0
	s_branch .LBB93_8
.LBB93_7:                               ;   in Loop: Header=BB93_8 Depth=2
	s_wait_xcnt 0x0
	s_or_b32 exec_lo, exec_lo, s2
	v_add_nc_u32_e32 v22, 16, v22
	v_add_nc_u64_e32 v[18:19], s[8:9], v[18:19]
	v_add_nc_u64_e32 v[20:21], s[18:19], v[20:21]
	s_delay_alu instid0(VALU_DEP_3) | instskip(SKIP_1) | instid1(SALU_CYCLE_1)
	v_cmp_le_i32_e64 s2, s20, v22
	s_or_b32 s23, s2, s23
	s_and_not1_b32 exec_lo, exec_lo, s23
	s_cbranch_execz .LBB93_10
.LBB93_8:                               ;   Parent Loop BB93_3 Depth=1
                                        ; =>  This Inner Loop Header: Depth=2
	s_delay_alu instid0(VALU_DEP_1) | instskip(SKIP_1) | instid1(SALU_CYCLE_1)
	v_cmp_lt_i32_e64 s2, v22, v6
	s_and_b32 s24, s1, s2
	s_and_saveexec_b32 s2, s24
	s_cbranch_execz .LBB93_7
; %bb.9:                                ;   in Loop: Header=BB93_8 Depth=2
	flat_load_b128 v[24:27], v[18:19] offset:-8
	flat_load_b128 v[28:31], v[20:21] offset:-8
	s_wait_loadcnt_dscnt 0x0
	v_mul_f64_e32 v[32:33], v[26:27], v[30:31]
	v_mul_f64_e32 v[30:31], v[24:25], v[30:31]
	s_delay_alu instid0(VALU_DEP_2) | instskip(NEXT) | instid1(VALU_DEP_2)
	v_fma_f64 v[24:25], v[24:25], v[28:29], -v[32:33]
	v_fmac_f64_e32 v[30:31], v[26:27], v[28:29]
	s_delay_alu instid0(VALU_DEP_2) | instskip(NEXT) | instid1(VALU_DEP_2)
	v_add_f64_e32 v[0:1], v[0:1], v[24:25]
	v_add_f64_e32 v[2:3], v[2:3], v[30:31]
	s_branch .LBB93_7
.LBB93_10:                              ;   in Loop: Header=BB93_3 Depth=1
	s_or_b32 exec_lo, exec_lo, s23
.LBB93_11:                              ;   in Loop: Header=BB93_3 Depth=1
	s_delay_alu instid0(SALU_CYCLE_1)
	s_or_b32 exec_lo, exec_lo, s22
	ds_store_b128 v7, v[0:3]
	s_wait_loadcnt_dscnt 0x0
	s_barrier_signal -1
	s_barrier_wait -1
	s_and_saveexec_b32 s2, s0
	s_cbranch_execz .LBB93_2
; %bb.12:                               ;   in Loop: Header=BB93_3 Depth=1
	ds_load_b128 v[0:3], v5
	ds_load_b128 v[18:21], v5 offset:1024
	s_wait_dscnt 0x0
	v_add_f64_e32 v[22:23], v[0:1], v[18:19]
	v_add_f64_e32 v[24:25], v[2:3], v[20:21]
	ds_load_b128 v[0:3], v5 offset:2048
	ds_load_b128 v[18:21], v5 offset:3072
	s_wait_dscnt 0x1
	v_add_f64_e32 v[0:1], v[22:23], v[0:1]
	v_add_f64_e32 v[2:3], v[24:25], v[2:3]
	s_wait_dscnt 0x0
	s_delay_alu instid0(VALU_DEP_2) | instskip(NEXT) | instid1(VALU_DEP_2)
	v_add_f64_e32 v[22:23], v[0:1], v[18:19]
	v_add_f64_e32 v[24:25], v[2:3], v[20:21]
	ds_load_b128 v[0:3], v5 offset:4096
	ds_load_b128 v[18:21], v5 offset:5120
	s_wait_dscnt 0x1
	v_add_f64_e32 v[0:1], v[22:23], v[0:1]
	v_add_f64_e32 v[2:3], v[24:25], v[2:3]
	s_wait_dscnt 0x0
	s_delay_alu instid0(VALU_DEP_2) | instskip(NEXT) | instid1(VALU_DEP_2)
	v_add_f64_e32 v[22:23], v[0:1], v[18:19]
	v_add_f64_e32 v[24:25], v[2:3], v[20:21]
	ds_load_b128 v[0:3], v5 offset:6144
	ds_load_b128 v[18:21], v5 offset:7168
	s_wait_dscnt 0x1
	v_add_f64_e32 v[0:1], v[22:23], v[0:1]
	v_add_f64_e32 v[2:3], v[24:25], v[2:3]
	s_wait_dscnt 0x0
	s_delay_alu instid0(VALU_DEP_2) | instskip(NEXT) | instid1(VALU_DEP_2)
	v_add_f64_e32 v[22:23], v[0:1], v[18:19]
	v_add_f64_e32 v[24:25], v[2:3], v[20:21]
	ds_load_b128 v[0:3], v5 offset:8192
	ds_load_b128 v[18:21], v5 offset:9216
	s_wait_dscnt 0x1
	v_add_f64_e32 v[0:1], v[22:23], v[0:1]
	v_add_f64_e32 v[2:3], v[24:25], v[2:3]
	s_wait_dscnt 0x0
	s_delay_alu instid0(VALU_DEP_2) | instskip(NEXT) | instid1(VALU_DEP_2)
	v_add_f64_e32 v[22:23], v[0:1], v[18:19]
	v_add_f64_e32 v[24:25], v[2:3], v[20:21]
	ds_load_b128 v[0:3], v5 offset:10240
	ds_load_b128 v[18:21], v5 offset:11264
	s_wait_dscnt 0x1
	v_add_f64_e32 v[0:1], v[22:23], v[0:1]
	v_add_f64_e32 v[2:3], v[24:25], v[2:3]
	s_wait_dscnt 0x0
	s_delay_alu instid0(VALU_DEP_2) | instskip(NEXT) | instid1(VALU_DEP_2)
	v_add_f64_e32 v[22:23], v[0:1], v[18:19]
	v_add_f64_e32 v[24:25], v[2:3], v[20:21]
	ds_load_b128 v[0:3], v5 offset:12288
	ds_load_b128 v[18:21], v5 offset:13312
	s_wait_dscnt 0x1
	v_add_f64_e32 v[0:1], v[22:23], v[0:1]
	v_add_f64_e32 v[2:3], v[24:25], v[2:3]
	s_wait_dscnt 0x0
	s_delay_alu instid0(VALU_DEP_2) | instskip(NEXT) | instid1(VALU_DEP_2)
	v_add_f64_e32 v[22:23], v[0:1], v[18:19]
	v_add_f64_e32 v[24:25], v[2:3], v[20:21]
	ds_load_b128 v[0:3], v5 offset:14336
	ds_load_b128 v[18:21], v5 offset:15360
	s_wait_dscnt 0x1
	v_add_f64_e32 v[0:1], v[22:23], v[0:1]
	v_add_f64_e32 v[2:3], v[24:25], v[2:3]
	s_wait_dscnt 0x0
	s_delay_alu instid0(VALU_DEP_2) | instskip(NEXT) | instid1(VALU_DEP_2)
	v_add_f64_e32 v[0:1], v[0:1], v[18:19]
	v_add_f64_e32 v[2:3], v[2:3], v[20:21]
	ds_store_b128 v5, v[0:3]
	s_and_b32 exec_lo, exec_lo, s1
	s_cbranch_execz .LBB93_2
; %bb.13:                               ;   in Loop: Header=BB93_3 Depth=1
	ds_load_2addr_b64 v[0:3], v5 offset1:1
	s_mul_u64 s[22:23], s[10:11], s[16:17]
	s_delay_alu instid0(SALU_CYCLE_1)
	v_lshl_add_u64 v[18:19], s[22:23], 4, v[16:17]
	s_wait_dscnt 0x0
	global_store_b128 v[18:19], v[0:3], off
	s_branch .LBB93_2
.LBB93_14:
	s_endpgm
	.section	.rodata,"a",@progbits
	.p2align	6, 0x0
	.amdhsa_kernel _ZL20rocblas_trmvn_kernelILi64ELi16ELb1ELb0EPKPK19rocblas_complex_numIdEPKPS1_S6_EviT3_lllT4_lllT5_li
		.amdhsa_group_segment_fixed_size 16384
		.amdhsa_private_segment_fixed_size 0
		.amdhsa_kernarg_size 352
		.amdhsa_user_sgpr_count 2
		.amdhsa_user_sgpr_dispatch_ptr 0
		.amdhsa_user_sgpr_queue_ptr 0
		.amdhsa_user_sgpr_kernarg_segment_ptr 1
		.amdhsa_user_sgpr_dispatch_id 0
		.amdhsa_user_sgpr_kernarg_preload_length 0
		.amdhsa_user_sgpr_kernarg_preload_offset 0
		.amdhsa_user_sgpr_private_segment_size 0
		.amdhsa_wavefront_size32 1
		.amdhsa_uses_dynamic_stack 0
		.amdhsa_enable_private_segment 0
		.amdhsa_system_sgpr_workgroup_id_x 1
		.amdhsa_system_sgpr_workgroup_id_y 0
		.amdhsa_system_sgpr_workgroup_id_z 1
		.amdhsa_system_sgpr_workgroup_info 0
		.amdhsa_system_vgpr_workitem_id 1
		.amdhsa_next_free_vgpr 34
		.amdhsa_next_free_sgpr 25
		.amdhsa_named_barrier_count 0
		.amdhsa_reserve_vcc 1
		.amdhsa_float_round_mode_32 0
		.amdhsa_float_round_mode_16_64 0
		.amdhsa_float_denorm_mode_32 3
		.amdhsa_float_denorm_mode_16_64 3
		.amdhsa_fp16_overflow 0
		.amdhsa_memory_ordered 1
		.amdhsa_forward_progress 1
		.amdhsa_inst_pref_size 10
		.amdhsa_round_robin_scheduling 0
		.amdhsa_exception_fp_ieee_invalid_op 0
		.amdhsa_exception_fp_denorm_src 0
		.amdhsa_exception_fp_ieee_div_zero 0
		.amdhsa_exception_fp_ieee_overflow 0
		.amdhsa_exception_fp_ieee_underflow 0
		.amdhsa_exception_fp_ieee_inexact 0
		.amdhsa_exception_int_div_zero 0
	.end_amdhsa_kernel
	.section	.text._ZL20rocblas_trmvn_kernelILi64ELi16ELb1ELb0EPKPK19rocblas_complex_numIdEPKPS1_S6_EviT3_lllT4_lllT5_li,"axG",@progbits,_ZL20rocblas_trmvn_kernelILi64ELi16ELb1ELb0EPKPK19rocblas_complex_numIdEPKPS1_S6_EviT3_lllT4_lllT5_li,comdat
.Lfunc_end93:
	.size	_ZL20rocblas_trmvn_kernelILi64ELi16ELb1ELb0EPKPK19rocblas_complex_numIdEPKPS1_S6_EviT3_lllT4_lllT5_li, .Lfunc_end93-_ZL20rocblas_trmvn_kernelILi64ELi16ELb1ELb0EPKPK19rocblas_complex_numIdEPKPS1_S6_EviT3_lllT4_lllT5_li
                                        ; -- End function
	.set _ZL20rocblas_trmvn_kernelILi64ELi16ELb1ELb0EPKPK19rocblas_complex_numIdEPKPS1_S6_EviT3_lllT4_lllT5_li.num_vgpr, 34
	.set _ZL20rocblas_trmvn_kernelILi64ELi16ELb1ELb0EPKPK19rocblas_complex_numIdEPKPS1_S6_EviT3_lllT4_lllT5_li.num_agpr, 0
	.set _ZL20rocblas_trmvn_kernelILi64ELi16ELb1ELb0EPKPK19rocblas_complex_numIdEPKPS1_S6_EviT3_lllT4_lllT5_li.numbered_sgpr, 25
	.set _ZL20rocblas_trmvn_kernelILi64ELi16ELb1ELb0EPKPK19rocblas_complex_numIdEPKPS1_S6_EviT3_lllT4_lllT5_li.num_named_barrier, 0
	.set _ZL20rocblas_trmvn_kernelILi64ELi16ELb1ELb0EPKPK19rocblas_complex_numIdEPKPS1_S6_EviT3_lllT4_lllT5_li.private_seg_size, 0
	.set _ZL20rocblas_trmvn_kernelILi64ELi16ELb1ELb0EPKPK19rocblas_complex_numIdEPKPS1_S6_EviT3_lllT4_lllT5_li.uses_vcc, 1
	.set _ZL20rocblas_trmvn_kernelILi64ELi16ELb1ELb0EPKPK19rocblas_complex_numIdEPKPS1_S6_EviT3_lllT4_lllT5_li.uses_flat_scratch, 0
	.set _ZL20rocblas_trmvn_kernelILi64ELi16ELb1ELb0EPKPK19rocblas_complex_numIdEPKPS1_S6_EviT3_lllT4_lllT5_li.has_dyn_sized_stack, 0
	.set _ZL20rocblas_trmvn_kernelILi64ELi16ELb1ELb0EPKPK19rocblas_complex_numIdEPKPS1_S6_EviT3_lllT4_lllT5_li.has_recursion, 0
	.set _ZL20rocblas_trmvn_kernelILi64ELi16ELb1ELb0EPKPK19rocblas_complex_numIdEPKPS1_S6_EviT3_lllT4_lllT5_li.has_indirect_call, 0
	.section	.AMDGPU.csdata,"",@progbits
; Kernel info:
; codeLenInByte = 1176
; TotalNumSgprs: 27
; NumVgprs: 34
; ScratchSize: 0
; MemoryBound: 0
; FloatMode: 240
; IeeeMode: 1
; LDSByteSize: 16384 bytes/workgroup (compile time only)
; SGPRBlocks: 0
; VGPRBlocks: 2
; NumSGPRsForWavesPerEU: 27
; NumVGPRsForWavesPerEU: 34
; NamedBarCnt: 0
; Occupancy: 16
; WaveLimiterHint : 1
; COMPUTE_PGM_RSRC2:SCRATCH_EN: 0
; COMPUTE_PGM_RSRC2:USER_SGPR: 2
; COMPUTE_PGM_RSRC2:TRAP_HANDLER: 0
; COMPUTE_PGM_RSRC2:TGID_X_EN: 1
; COMPUTE_PGM_RSRC2:TGID_Y_EN: 0
; COMPUTE_PGM_RSRC2:TGID_Z_EN: 1
; COMPUTE_PGM_RSRC2:TIDIG_COMP_CNT: 1
	.section	.text._ZL20rocblas_trmvt_kernelILi512ELb1ELb0ELb0EPKPK19rocblas_complex_numIdEPKPS1_S6_EviT3_lllT4_lllT5_li,"axG",@progbits,_ZL20rocblas_trmvt_kernelILi512ELb1ELb0ELb0EPKPK19rocblas_complex_numIdEPKPS1_S6_EviT3_lllT4_lllT5_li,comdat
	.globl	_ZL20rocblas_trmvt_kernelILi512ELb1ELb0ELb0EPKPK19rocblas_complex_numIdEPKPS1_S6_EviT3_lllT4_lllT5_li ; -- Begin function _ZL20rocblas_trmvt_kernelILi512ELb1ELb0ELb0EPKPK19rocblas_complex_numIdEPKPS1_S6_EviT3_lllT4_lllT5_li
	.p2align	8
	.type	_ZL20rocblas_trmvt_kernelILi512ELb1ELb0ELb0EPKPK19rocblas_complex_numIdEPKPS1_S6_EviT3_lllT4_lllT5_li,@function
_ZL20rocblas_trmvt_kernelILi512ELb1ELb0ELb0EPKPK19rocblas_complex_numIdEPKPS1_S6_EviT3_lllT4_lllT5_li: ; @_ZL20rocblas_trmvt_kernelILi512ELb1ELb0ELb0EPKPK19rocblas_complex_numIdEPKPS1_S6_EviT3_lllT4_lllT5_li
; %bb.0:
	s_load_b32 s28, s[0:1], 0x58
	s_bfe_u32 s2, ttmp6, 0x40014
	s_lshr_b32 s4, ttmp7, 16
	s_add_co_i32 s2, s2, 1
	s_bfe_u32 s5, ttmp6, 0x40008
	s_mul_i32 s2, s4, s2
	s_getreg_b32 s3, hwreg(HW_REG_IB_STS2, 6, 4)
	s_add_co_i32 s5, s5, s2
	s_cmp_eq_u32 s3, 0
	s_mov_b32 s17, 0
	s_cselect_b32 s16, s4, s5
	s_wait_kmcnt 0x0
	s_cmp_ge_u32 s16, s28
	s_cbranch_scc1 .LBB94_21
; %bb.1:
	s_clause 0x5
	s_load_b64 s[24:25], s[0:1], 0x38
	s_load_b32 s29, s[0:1], 0x0
	s_load_b128 s[8:11], s[0:1], 0x8
	s_load_b64 s[20:21], s[0:1], 0x18
	s_load_b128 s[12:15], s[0:1], 0x28
	s_load_b128 s[4:7], s[0:1], 0x48
	v_dual_mov_b32 v7, 0 :: v_dual_bitop2_b32 v4, 31, v0 bitop3:0x40
	v_mbcnt_lo_u32_b32 v5, -1, 0
	s_wait_xcnt 0x0
	s_bfe_u32 s1, ttmp6, 0x4000c
	s_delay_alu instid0(VALU_DEP_2)
	v_dual_mov_b32 v1, v7 :: v_dual_lshrrev_b32 v6, 1, v0
	s_add_co_i32 s2, s1, 1
	s_and_b32 s18, ttmp6, 15
	s_mul_i32 s19, ttmp9, s2
	v_cmp_gt_u32_e64 s2, 24, v5
	s_add_co_i32 s18, s18, s19
	s_cmp_eq_u32 s3, 0
	v_and_b32_e32 v17, 0xf0, v6
	s_cselect_b32 s18, ttmp9, s18
	s_wait_kmcnt 0x0
	v_mul_u64_e32 v[2:3], s[24:25], v[0:1]
	v_cndmask_b32_e64 v8, 0, 8, s2
	v_cmp_gt_u32_e64 s2, 28, v5
	v_cmp_gt_i32_e64 s3, s29, v0
	s_lshl_b64 s[14:15], s[14:15], 4
	v_lshlrev_b32_e32 v1, 4, v4
	s_ashr_i32 s19, s18, 31
	v_cndmask_b32_e64 v9, 0, 4, s2
	v_cmp_gt_u32_e64 s2, 30, v5
	s_mul_u64 s[20:21], s[20:21], s[18:19]
	s_lshl_b64 s[10:11], s[10:11], 4
	s_lshl_b64 s[22:23], s[20:21], 4
	v_add_lshl_u32 v18, v8, v5, 2
	v_cndmask_b32_e64 v10, 0, 2, s2
	v_cmp_ne_u32_e64 s2, 31, v5
	s_add_nc_u64 s[22:23], s[22:23], s[10:11]
	v_add_lshl_u32 v19, v9, v5, 2
	v_cmp_gt_u32_e64 s0, 32, v0
	v_add_lshl_u32 v20, v10, v5, 2
	v_add_co_ci_u32_e64 v12, null, 0, v5, s2
	v_cmp_eq_u32_e64 s2, 0, v4
	v_cmp_gt_u32_e64 s1, 16, v0
	v_lshl_or_b32 v16, v5, 2, 64
	s_delay_alu instid0(VALU_DEP_4)
	v_lshlrev_b32_e32 v21, 2, v12
	s_mul_u64 s[26:27], s[24:25], s[18:19]
	s_lshl_b64 s[24:25], s[24:25], 13
	s_lshl_b64 s[26:27], s[26:27], 4
	v_cmp_eq_u32_e32 vcc_lo, 0, v0
	v_lshl_add_u64 v[10:11], v[2:3], 4, s[14:15]
	s_delay_alu instid0(VALU_DEP_1) | instskip(NEXT) | instid1(VALU_DEP_1)
	v_dual_cndmask_b32 v4, 0, v0, s3 :: v_dual_bitop2_b32 v10, 8, v10 bitop3:0x54
	v_lshlrev_b32_e32 v6, 4, v4
	s_delay_alu instid0(VALU_DEP_1) | instskip(SKIP_2) | instid1(SALU_CYCLE_1)
	v_add_nc_u64_e32 v[8:9], s[22:23], v[6:7]
	v_lshlrev_b32_e32 v6, 4, v4
	s_lshl_b64 s[22:23], s[18:19], 4
	s_add_nc_u64 s[22:23], s[4:5], s[22:23]
	s_delay_alu instid0(VALU_DEP_2)
	v_or_b32_e32 v8, 8, v8
	s_branch .LBB94_3
.LBB94_2:                               ;   in Loop: Header=BB94_3 Depth=1
	s_wait_xcnt 0x0
	s_or_b32 exec_lo, exec_lo, s4
	s_add_co_i32 s16, s16, 0x10000
	s_delay_alu instid0(SALU_CYCLE_1)
	s_cmp_lt_u32 s16, s28
	s_cbranch_scc0 .LBB94_21
.LBB94_3:                               ; =>This Loop Header: Depth=1
                                        ;     Child Loop BB94_15 Depth 2
	s_wait_dscnt 0x0
	v_mov_b32_e32 v2, s16
	v_mov_b64_e32 v[4:5], 0
	s_clause 0x1
	global_load_b64 v[14:15], v2, s[8:9] scale_offset
	global_load_b64 v[12:13], v2, s[12:13] scale_offset
	s_wait_xcnt 0x0
	v_mov_b64_e32 v[2:3], 0
	s_and_saveexec_b32 s4, vcc_lo
	s_cbranch_execnz .LBB94_12
; %bb.4:                                ;   in Loop: Header=BB94_3 Depth=1
	s_or_b32 exec_lo, exec_lo, s4
	s_and_saveexec_b32 s5, s3
	s_cbranch_execnz .LBB94_13
.LBB94_5:                               ;   in Loop: Header=BB94_3 Depth=1
	s_or_b32 exec_lo, exec_lo, s5
	s_and_saveexec_b32 s4, s0
	s_cbranch_execz .LBB94_7
.LBB94_6:                               ;   in Loop: Header=BB94_3 Depth=1
	s_wait_loadcnt 0x0
	v_dual_mov_b32 v12, v7 :: v_dual_mov_b32 v13, v7
	v_dual_mov_b32 v14, v7 :: v_dual_mov_b32 v15, v7
	ds_store_b128 v1, v[12:15]
.LBB94_7:                               ;   in Loop: Header=BB94_3 Depth=1
	s_or_b32 exec_lo, exec_lo, s4
	s_wait_loadcnt 0x0
	ds_bpermute_b32 v12, v16, v4
	ds_bpermute_b32 v13, v16, v5
	;; [unrolled: 1-line block ×4, first 2 shown]
	s_wait_dscnt 0x0
	s_barrier_signal -1
	s_barrier_wait -1
	v_add_f64_e32 v[4:5], v[4:5], v[12:13]
	v_add_f64_e32 v[2:3], v[2:3], v[14:15]
	ds_bpermute_b32 v12, v18, v4
	ds_bpermute_b32 v13, v18, v5
	ds_bpermute_b32 v14, v18, v2
	ds_bpermute_b32 v15, v18, v3
	s_wait_dscnt 0x2
	v_add_f64_e32 v[4:5], v[4:5], v[12:13]
	s_wait_dscnt 0x0
	v_add_f64_e32 v[2:3], v[2:3], v[14:15]
	ds_bpermute_b32 v12, v19, v4
	ds_bpermute_b32 v13, v19, v5
	ds_bpermute_b32 v14, v19, v2
	ds_bpermute_b32 v15, v19, v3
	s_wait_dscnt 0x2
	v_add_f64_e32 v[4:5], v[4:5], v[12:13]
	s_wait_dscnt 0x0
	;; [unrolled: 8-line block ×3, first 2 shown]
	v_add_f64_e32 v[12:13], v[12:13], v[14:15]
	ds_bpermute_b32 v4, v21, v2
	ds_bpermute_b32 v5, v21, v3
	;; [unrolled: 1-line block ×4, first 2 shown]
	s_and_saveexec_b32 s4, s2
	s_cbranch_execz .LBB94_9
; %bb.8:                                ;   in Loop: Header=BB94_3 Depth=1
	s_wait_dscnt 0x0
	v_add_f64_e32 v[14:15], v[12:13], v[14:15]
	v_add_f64_e32 v[12:13], v[2:3], v[4:5]
	ds_store_b128 v17, v[12:15]
.LBB94_9:                               ;   in Loop: Header=BB94_3 Depth=1
	s_or_b32 exec_lo, exec_lo, s4
	s_wait_dscnt 0x2
	v_mov_b64_e32 v[4:5], 0
	v_mov_b64_e32 v[2:3], 0
	s_wait_dscnt 0x0
	s_barrier_signal -1
	s_barrier_wait -1
	s_and_saveexec_b32 s4, s1
	s_cbranch_execnz .LBB94_17
; %bb.10:                               ;   in Loop: Header=BB94_3 Depth=1
	s_or_b32 exec_lo, exec_lo, s4
	s_and_saveexec_b32 s4, s0
	s_cbranch_execnz .LBB94_18
.LBB94_11:                              ;   in Loop: Header=BB94_3 Depth=1
	s_or_b32 exec_lo, exec_lo, s4
	s_and_saveexec_b32 s4, vcc_lo
	s_cbranch_execz .LBB94_2
	s_branch .LBB94_19
.LBB94_12:                              ;   in Loop: Header=BB94_3 Depth=1
	s_wait_loadcnt 0x1
	v_add_nc_u64_e32 v[2:3], s[10:11], v[14:15]
	s_wait_loadcnt 0x0
	v_add_nc_u64_e32 v[4:5], s[14:15], v[12:13]
	s_delay_alu instid0(VALU_DEP_2) | instskip(NEXT) | instid1(VALU_DEP_2)
	v_add_nc_u64_e32 v[2:3], v[2:3], v[6:7]
	v_add_nc_u64_e32 v[26:27], s[26:27], v[4:5]
	s_delay_alu instid0(VALU_DEP_2) | instskip(NEXT) | instid1(VALU_DEP_1)
	v_lshl_add_u64 v[2:3], s[20:21], 4, v[2:3]
	v_lshl_add_u64 v[28:29], s[18:19], 4, v[2:3]
	flat_load_b128 v[2:5], v[26:27]
	flat_load_b128 v[22:25], v[28:29]
	s_wait_loadcnt_dscnt 0x0
	s_wait_xcnt 0x1
	v_mul_f64_e32 v[26:27], v[24:25], v[4:5]
	s_wait_xcnt 0x0
	v_mul_f64_e32 v[28:29], v[22:23], v[4:5]
	s_delay_alu instid0(VALU_DEP_2) | instskip(NEXT) | instid1(VALU_DEP_2)
	v_fma_f64 v[4:5], v[22:23], v[2:3], -v[26:27]
	v_fmac_f64_e32 v[28:29], v[24:25], v[2:3]
	s_delay_alu instid0(VALU_DEP_2) | instskip(NEXT) | instid1(VALU_DEP_2)
	v_add_f64_e32 v[4:5], 0, v[4:5]
	v_add_f64_e32 v[2:3], 0, v[28:29]
	s_or_b32 exec_lo, exec_lo, s4
	s_and_saveexec_b32 s5, s3
	s_cbranch_execz .LBB94_5
.LBB94_13:                              ;   in Loop: Header=BB94_3 Depth=1
	s_wait_loadcnt 0x0
	v_add_nc_u64_e32 v[12:13], v[12:13], v[10:11]
	v_add_nc_u64_e32 v[14:15], v[14:15], v[8:9]
	v_mov_b32_e32 v22, v0
	s_mov_b32 s30, 0
	s_branch .LBB94_15
.LBB94_14:                              ;   in Loop: Header=BB94_15 Depth=2
	s_wait_xcnt 0x0
	s_or_b32 exec_lo, exec_lo, s31
	v_add_nc_u32_e32 v22, 0x200, v22
	v_add_nc_u64_e32 v[12:13], s[24:25], v[12:13]
	v_add_nc_u64_e32 v[14:15], 0x2000, v[14:15]
	s_delay_alu instid0(VALU_DEP_3) | instskip(SKIP_1) | instid1(SALU_CYCLE_1)
	v_cmp_le_i32_e64 s4, s29, v22
	s_or_b32 s30, s4, s30
	s_and_not1_b32 exec_lo, exec_lo, s30
	s_cbranch_execz .LBB94_20
.LBB94_15:                              ;   Parent Loop BB94_3 Depth=1
                                        ; =>  This Inner Loop Header: Depth=2
	s_mov_b32 s31, exec_lo
	s_delay_alu instid0(VALU_DEP_1)
	v_cmpx_lt_i32_e64 s18, v22
	s_cbranch_execz .LBB94_14
; %bb.16:                               ;   in Loop: Header=BB94_15 Depth=2
	flat_load_b128 v[24:27], v[14:15] offset:-8
	flat_load_b128 v[28:31], v[12:13] offset:-8
	s_wait_loadcnt_dscnt 0x0
	v_mul_f64_e32 v[32:33], v[26:27], v[30:31]
	v_mul_f64_e32 v[30:31], v[24:25], v[30:31]
	s_delay_alu instid0(VALU_DEP_2) | instskip(NEXT) | instid1(VALU_DEP_2)
	v_fma_f64 v[24:25], v[24:25], v[28:29], -v[32:33]
	v_fmac_f64_e32 v[30:31], v[26:27], v[28:29]
	s_delay_alu instid0(VALU_DEP_2) | instskip(NEXT) | instid1(VALU_DEP_2)
	v_add_f64_e32 v[4:5], v[4:5], v[24:25]
	v_add_f64_e32 v[2:3], v[2:3], v[30:31]
	s_branch .LBB94_14
.LBB94_17:                              ;   in Loop: Header=BB94_3 Depth=1
	ds_load_b128 v[2:5], v1
	s_or_b32 exec_lo, exec_lo, s4
	s_and_saveexec_b32 s4, s0
	s_cbranch_execz .LBB94_11
.LBB94_18:                              ;   in Loop: Header=BB94_3 Depth=1
	s_wait_dscnt 0x0
	ds_bpermute_b32 v12, v18, v2
	ds_bpermute_b32 v13, v18, v3
	ds_bpermute_b32 v14, v18, v4
	ds_bpermute_b32 v15, v18, v5
	s_wait_dscnt 0x2
	v_add_f64_e32 v[2:3], v[2:3], v[12:13]
	s_wait_dscnt 0x0
	v_add_f64_e32 v[4:5], v[4:5], v[14:15]
	ds_bpermute_b32 v12, v19, v2
	ds_bpermute_b32 v13, v19, v3
	ds_bpermute_b32 v14, v19, v4
	ds_bpermute_b32 v15, v19, v5
	s_wait_dscnt 0x2
	v_add_f64_e32 v[2:3], v[2:3], v[12:13]
	s_wait_dscnt 0x0
	v_add_f64_e32 v[4:5], v[4:5], v[14:15]
	;; [unrolled: 8-line block ×4, first 2 shown]
	s_or_b32 exec_lo, exec_lo, s4
	s_and_saveexec_b32 s4, vcc_lo
	s_cbranch_execz .LBB94_2
.LBB94_19:                              ;   in Loop: Header=BB94_3 Depth=1
	s_mul_u64 s[30:31], s[6:7], s[16:17]
	s_delay_alu instid0(SALU_CYCLE_1) | instskip(NEXT) | instid1(SALU_CYCLE_1)
	s_lshl_b64 s[30:31], s[30:31], 4
	s_add_nc_u64 s[30:31], s[22:23], s[30:31]
	s_wait_dscnt 0x0
	global_store_b128 v7, v[2:5], s[30:31]
	s_branch .LBB94_2
.LBB94_20:                              ;   in Loop: Header=BB94_3 Depth=1
	s_or_b32 exec_lo, exec_lo, s30
	s_delay_alu instid0(SALU_CYCLE_1)
	s_or_b32 exec_lo, exec_lo, s5
	s_and_saveexec_b32 s4, s0
	s_cbranch_execnz .LBB94_6
	s_branch .LBB94_7
.LBB94_21:
	s_endpgm
	.section	.rodata,"a",@progbits
	.p2align	6, 0x0
	.amdhsa_kernel _ZL20rocblas_trmvt_kernelILi512ELb1ELb0ELb0EPKPK19rocblas_complex_numIdEPKPS1_S6_EviT3_lllT4_lllT5_li
		.amdhsa_group_segment_fixed_size 512
		.amdhsa_private_segment_fixed_size 0
		.amdhsa_kernarg_size 92
		.amdhsa_user_sgpr_count 2
		.amdhsa_user_sgpr_dispatch_ptr 0
		.amdhsa_user_sgpr_queue_ptr 0
		.amdhsa_user_sgpr_kernarg_segment_ptr 1
		.amdhsa_user_sgpr_dispatch_id 0
		.amdhsa_user_sgpr_kernarg_preload_length 0
		.amdhsa_user_sgpr_kernarg_preload_offset 0
		.amdhsa_user_sgpr_private_segment_size 0
		.amdhsa_wavefront_size32 1
		.amdhsa_uses_dynamic_stack 0
		.amdhsa_enable_private_segment 0
		.amdhsa_system_sgpr_workgroup_id_x 1
		.amdhsa_system_sgpr_workgroup_id_y 0
		.amdhsa_system_sgpr_workgroup_id_z 1
		.amdhsa_system_sgpr_workgroup_info 0
		.amdhsa_system_vgpr_workitem_id 0
		.amdhsa_next_free_vgpr 34
		.amdhsa_next_free_sgpr 32
		.amdhsa_named_barrier_count 0
		.amdhsa_reserve_vcc 1
		.amdhsa_float_round_mode_32 0
		.amdhsa_float_round_mode_16_64 0
		.amdhsa_float_denorm_mode_32 3
		.amdhsa_float_denorm_mode_16_64 3
		.amdhsa_fp16_overflow 0
		.amdhsa_memory_ordered 1
		.amdhsa_forward_progress 1
		.amdhsa_inst_pref_size 12
		.amdhsa_round_robin_scheduling 0
		.amdhsa_exception_fp_ieee_invalid_op 0
		.amdhsa_exception_fp_denorm_src 0
		.amdhsa_exception_fp_ieee_div_zero 0
		.amdhsa_exception_fp_ieee_overflow 0
		.amdhsa_exception_fp_ieee_underflow 0
		.amdhsa_exception_fp_ieee_inexact 0
		.amdhsa_exception_int_div_zero 0
	.end_amdhsa_kernel
	.section	.text._ZL20rocblas_trmvt_kernelILi512ELb1ELb0ELb0EPKPK19rocblas_complex_numIdEPKPS1_S6_EviT3_lllT4_lllT5_li,"axG",@progbits,_ZL20rocblas_trmvt_kernelILi512ELb1ELb0ELb0EPKPK19rocblas_complex_numIdEPKPS1_S6_EviT3_lllT4_lllT5_li,comdat
.Lfunc_end94:
	.size	_ZL20rocblas_trmvt_kernelILi512ELb1ELb0ELb0EPKPK19rocblas_complex_numIdEPKPS1_S6_EviT3_lllT4_lllT5_li, .Lfunc_end94-_ZL20rocblas_trmvt_kernelILi512ELb1ELb0ELb0EPKPK19rocblas_complex_numIdEPKPS1_S6_EviT3_lllT4_lllT5_li
                                        ; -- End function
	.set _ZL20rocblas_trmvt_kernelILi512ELb1ELb0ELb0EPKPK19rocblas_complex_numIdEPKPS1_S6_EviT3_lllT4_lllT5_li.num_vgpr, 34
	.set _ZL20rocblas_trmvt_kernelILi512ELb1ELb0ELb0EPKPK19rocblas_complex_numIdEPKPS1_S6_EviT3_lllT4_lllT5_li.num_agpr, 0
	.set _ZL20rocblas_trmvt_kernelILi512ELb1ELb0ELb0EPKPK19rocblas_complex_numIdEPKPS1_S6_EviT3_lllT4_lllT5_li.numbered_sgpr, 32
	.set _ZL20rocblas_trmvt_kernelILi512ELb1ELb0ELb0EPKPK19rocblas_complex_numIdEPKPS1_S6_EviT3_lllT4_lllT5_li.num_named_barrier, 0
	.set _ZL20rocblas_trmvt_kernelILi512ELb1ELb0ELb0EPKPK19rocblas_complex_numIdEPKPS1_S6_EviT3_lllT4_lllT5_li.private_seg_size, 0
	.set _ZL20rocblas_trmvt_kernelILi512ELb1ELb0ELb0EPKPK19rocblas_complex_numIdEPKPS1_S6_EviT3_lllT4_lllT5_li.uses_vcc, 1
	.set _ZL20rocblas_trmvt_kernelILi512ELb1ELb0ELb0EPKPK19rocblas_complex_numIdEPKPS1_S6_EviT3_lllT4_lllT5_li.uses_flat_scratch, 0
	.set _ZL20rocblas_trmvt_kernelILi512ELb1ELb0ELb0EPKPK19rocblas_complex_numIdEPKPS1_S6_EviT3_lllT4_lllT5_li.has_dyn_sized_stack, 0
	.set _ZL20rocblas_trmvt_kernelILi512ELb1ELb0ELb0EPKPK19rocblas_complex_numIdEPKPS1_S6_EviT3_lllT4_lllT5_li.has_recursion, 0
	.set _ZL20rocblas_trmvt_kernelILi512ELb1ELb0ELb0EPKPK19rocblas_complex_numIdEPKPS1_S6_EviT3_lllT4_lllT5_li.has_indirect_call, 0
	.section	.AMDGPU.csdata,"",@progbits
; Kernel info:
; codeLenInByte = 1496
; TotalNumSgprs: 34
; NumVgprs: 34
; ScratchSize: 0
; MemoryBound: 0
; FloatMode: 240
; IeeeMode: 1
; LDSByteSize: 512 bytes/workgroup (compile time only)
; SGPRBlocks: 0
; VGPRBlocks: 2
; NumSGPRsForWavesPerEU: 34
; NumVGPRsForWavesPerEU: 34
; NamedBarCnt: 0
; Occupancy: 16
; WaveLimiterHint : 1
; COMPUTE_PGM_RSRC2:SCRATCH_EN: 0
; COMPUTE_PGM_RSRC2:USER_SGPR: 2
; COMPUTE_PGM_RSRC2:TRAP_HANDLER: 0
; COMPUTE_PGM_RSRC2:TGID_X_EN: 1
; COMPUTE_PGM_RSRC2:TGID_Y_EN: 0
; COMPUTE_PGM_RSRC2:TGID_Z_EN: 1
; COMPUTE_PGM_RSRC2:TIDIG_COMP_CNT: 0
	.section	.text._ZL20rocblas_trmvt_kernelILi512ELb1ELb1ELb0EPKPK19rocblas_complex_numIdEPKPS1_S6_EviT3_lllT4_lllT5_li,"axG",@progbits,_ZL20rocblas_trmvt_kernelILi512ELb1ELb1ELb0EPKPK19rocblas_complex_numIdEPKPS1_S6_EviT3_lllT4_lllT5_li,comdat
	.globl	_ZL20rocblas_trmvt_kernelILi512ELb1ELb1ELb0EPKPK19rocblas_complex_numIdEPKPS1_S6_EviT3_lllT4_lllT5_li ; -- Begin function _ZL20rocblas_trmvt_kernelILi512ELb1ELb1ELb0EPKPK19rocblas_complex_numIdEPKPS1_S6_EviT3_lllT4_lllT5_li
	.p2align	8
	.type	_ZL20rocblas_trmvt_kernelILi512ELb1ELb1ELb0EPKPK19rocblas_complex_numIdEPKPS1_S6_EviT3_lllT4_lllT5_li,@function
_ZL20rocblas_trmvt_kernelILi512ELb1ELb1ELb0EPKPK19rocblas_complex_numIdEPKPS1_S6_EviT3_lllT4_lllT5_li: ; @_ZL20rocblas_trmvt_kernelILi512ELb1ELb1ELb0EPKPK19rocblas_complex_numIdEPKPS1_S6_EviT3_lllT4_lllT5_li
; %bb.0:
	s_load_b32 s28, s[0:1], 0x58
	s_bfe_u32 s2, ttmp6, 0x40014
	s_lshr_b32 s4, ttmp7, 16
	s_add_co_i32 s2, s2, 1
	s_bfe_u32 s5, ttmp6, 0x40008
	s_mul_i32 s2, s4, s2
	s_getreg_b32 s3, hwreg(HW_REG_IB_STS2, 6, 4)
	s_add_co_i32 s5, s5, s2
	s_cmp_eq_u32 s3, 0
	s_mov_b32 s17, 0
	s_cselect_b32 s16, s4, s5
	s_wait_kmcnt 0x0
	s_cmp_ge_u32 s16, s28
	s_cbranch_scc1 .LBB95_21
; %bb.1:
	s_clause 0x5
	s_load_b64 s[24:25], s[0:1], 0x38
	s_load_b32 s29, s[0:1], 0x0
	s_load_b128 s[8:11], s[0:1], 0x8
	s_load_b64 s[20:21], s[0:1], 0x18
	s_load_b128 s[12:15], s[0:1], 0x28
	s_load_b128 s[4:7], s[0:1], 0x48
	v_dual_mov_b32 v7, 0 :: v_dual_bitop2_b32 v4, 31, v0 bitop3:0x40
	v_mbcnt_lo_u32_b32 v5, -1, 0
	s_wait_xcnt 0x0
	s_bfe_u32 s1, ttmp6, 0x4000c
	s_delay_alu instid0(VALU_DEP_2)
	v_dual_mov_b32 v1, v7 :: v_dual_lshrrev_b32 v6, 1, v0
	s_add_co_i32 s2, s1, 1
	s_and_b32 s18, ttmp6, 15
	s_mul_i32 s19, ttmp9, s2
	v_cmp_gt_u32_e64 s2, 24, v5
	s_add_co_i32 s18, s18, s19
	s_cmp_eq_u32 s3, 0
	v_and_b32_e32 v17, 0xf0, v6
	s_cselect_b32 s18, ttmp9, s18
	s_wait_kmcnt 0x0
	v_mul_u64_e32 v[2:3], s[24:25], v[0:1]
	v_cndmask_b32_e64 v8, 0, 8, s2
	v_cmp_gt_u32_e64 s2, 28, v5
	v_cmp_gt_i32_e64 s3, s29, v0
	s_lshl_b64 s[14:15], s[14:15], 4
	v_lshlrev_b32_e32 v1, 4, v4
	s_ashr_i32 s19, s18, 31
	v_cndmask_b32_e64 v9, 0, 4, s2
	v_cmp_gt_u32_e64 s2, 30, v5
	s_mul_u64 s[20:21], s[20:21], s[18:19]
	s_lshl_b64 s[10:11], s[10:11], 4
	s_lshl_b64 s[22:23], s[20:21], 4
	v_add_lshl_u32 v18, v8, v5, 2
	v_cndmask_b32_e64 v10, 0, 2, s2
	v_cmp_ne_u32_e64 s2, 31, v5
	s_add_nc_u64 s[22:23], s[22:23], s[10:11]
	v_add_lshl_u32 v19, v9, v5, 2
	v_cmp_gt_u32_e64 s0, 32, v0
	v_add_lshl_u32 v20, v10, v5, 2
	v_add_co_ci_u32_e64 v12, null, 0, v5, s2
	v_cmp_eq_u32_e64 s2, 0, v4
	v_cmp_gt_u32_e64 s1, 16, v0
	v_lshl_or_b32 v16, v5, 2, 64
	s_delay_alu instid0(VALU_DEP_4)
	v_lshlrev_b32_e32 v21, 2, v12
	s_mul_u64 s[26:27], s[24:25], s[18:19]
	s_lshl_b64 s[24:25], s[24:25], 13
	s_lshl_b64 s[26:27], s[26:27], 4
	v_cmp_eq_u32_e32 vcc_lo, 0, v0
	v_lshl_add_u64 v[10:11], v[2:3], 4, s[14:15]
	s_delay_alu instid0(VALU_DEP_1) | instskip(NEXT) | instid1(VALU_DEP_1)
	v_dual_cndmask_b32 v4, 0, v0, s3 :: v_dual_bitop2_b32 v10, 8, v10 bitop3:0x54
	v_lshlrev_b32_e32 v6, 4, v4
	s_delay_alu instid0(VALU_DEP_1) | instskip(SKIP_2) | instid1(SALU_CYCLE_1)
	v_add_nc_u64_e32 v[8:9], s[22:23], v[6:7]
	v_lshlrev_b32_e32 v6, 4, v4
	s_lshl_b64 s[22:23], s[18:19], 4
	s_add_nc_u64 s[22:23], s[4:5], s[22:23]
	s_delay_alu instid0(VALU_DEP_2)
	v_or_b32_e32 v8, 8, v8
	s_branch .LBB95_3
.LBB95_2:                               ;   in Loop: Header=BB95_3 Depth=1
	s_wait_xcnt 0x0
	s_or_b32 exec_lo, exec_lo, s4
	s_add_co_i32 s16, s16, 0x10000
	s_delay_alu instid0(SALU_CYCLE_1)
	s_cmp_lt_u32 s16, s28
	s_cbranch_scc0 .LBB95_21
.LBB95_3:                               ; =>This Loop Header: Depth=1
                                        ;     Child Loop BB95_15 Depth 2
	s_wait_dscnt 0x0
	v_mov_b32_e32 v2, s16
	v_mov_b64_e32 v[4:5], 0
	s_clause 0x1
	global_load_b64 v[14:15], v2, s[8:9] scale_offset
	global_load_b64 v[12:13], v2, s[12:13] scale_offset
	s_wait_xcnt 0x0
	v_mov_b64_e32 v[2:3], 0
	s_and_saveexec_b32 s4, vcc_lo
	s_cbranch_execnz .LBB95_12
; %bb.4:                                ;   in Loop: Header=BB95_3 Depth=1
	s_or_b32 exec_lo, exec_lo, s4
	s_and_saveexec_b32 s5, s3
	s_cbranch_execnz .LBB95_13
.LBB95_5:                               ;   in Loop: Header=BB95_3 Depth=1
	s_or_b32 exec_lo, exec_lo, s5
	s_and_saveexec_b32 s4, s0
	s_cbranch_execz .LBB95_7
.LBB95_6:                               ;   in Loop: Header=BB95_3 Depth=1
	s_wait_loadcnt 0x0
	v_dual_mov_b32 v12, v7 :: v_dual_mov_b32 v13, v7
	v_dual_mov_b32 v14, v7 :: v_dual_mov_b32 v15, v7
	ds_store_b128 v1, v[12:15]
.LBB95_7:                               ;   in Loop: Header=BB95_3 Depth=1
	s_or_b32 exec_lo, exec_lo, s4
	s_wait_loadcnt 0x0
	ds_bpermute_b32 v12, v16, v4
	ds_bpermute_b32 v13, v16, v5
	;; [unrolled: 1-line block ×4, first 2 shown]
	s_wait_dscnt 0x0
	s_barrier_signal -1
	s_barrier_wait -1
	v_add_f64_e32 v[4:5], v[4:5], v[12:13]
	v_add_f64_e32 v[2:3], v[2:3], v[14:15]
	ds_bpermute_b32 v12, v18, v4
	ds_bpermute_b32 v13, v18, v5
	ds_bpermute_b32 v14, v18, v2
	ds_bpermute_b32 v15, v18, v3
	s_wait_dscnt 0x2
	v_add_f64_e32 v[4:5], v[4:5], v[12:13]
	s_wait_dscnt 0x0
	v_add_f64_e32 v[2:3], v[2:3], v[14:15]
	ds_bpermute_b32 v12, v19, v4
	ds_bpermute_b32 v13, v19, v5
	ds_bpermute_b32 v14, v19, v2
	ds_bpermute_b32 v15, v19, v3
	s_wait_dscnt 0x2
	v_add_f64_e32 v[4:5], v[4:5], v[12:13]
	s_wait_dscnt 0x0
	;; [unrolled: 8-line block ×3, first 2 shown]
	v_add_f64_e32 v[12:13], v[12:13], v[14:15]
	ds_bpermute_b32 v4, v21, v2
	ds_bpermute_b32 v5, v21, v3
	;; [unrolled: 1-line block ×4, first 2 shown]
	s_and_saveexec_b32 s4, s2
	s_cbranch_execz .LBB95_9
; %bb.8:                                ;   in Loop: Header=BB95_3 Depth=1
	s_wait_dscnt 0x0
	v_add_f64_e32 v[14:15], v[12:13], v[14:15]
	v_add_f64_e32 v[12:13], v[2:3], v[4:5]
	ds_store_b128 v17, v[12:15]
.LBB95_9:                               ;   in Loop: Header=BB95_3 Depth=1
	s_or_b32 exec_lo, exec_lo, s4
	s_wait_dscnt 0x2
	v_mov_b64_e32 v[4:5], 0
	v_mov_b64_e32 v[2:3], 0
	s_wait_dscnt 0x0
	s_barrier_signal -1
	s_barrier_wait -1
	s_and_saveexec_b32 s4, s1
	s_cbranch_execnz .LBB95_17
; %bb.10:                               ;   in Loop: Header=BB95_3 Depth=1
	s_or_b32 exec_lo, exec_lo, s4
	s_and_saveexec_b32 s4, s0
	s_cbranch_execnz .LBB95_18
.LBB95_11:                              ;   in Loop: Header=BB95_3 Depth=1
	s_or_b32 exec_lo, exec_lo, s4
	s_and_saveexec_b32 s4, vcc_lo
	s_cbranch_execz .LBB95_2
	s_branch .LBB95_19
.LBB95_12:                              ;   in Loop: Header=BB95_3 Depth=1
	s_wait_loadcnt 0x1
	v_add_nc_u64_e32 v[2:3], s[10:11], v[14:15]
	s_wait_loadcnt 0x0
	v_add_nc_u64_e32 v[4:5], s[14:15], v[12:13]
	s_delay_alu instid0(VALU_DEP_2) | instskip(NEXT) | instid1(VALU_DEP_2)
	v_add_nc_u64_e32 v[2:3], v[2:3], v[6:7]
	v_add_nc_u64_e32 v[26:27], s[26:27], v[4:5]
	s_delay_alu instid0(VALU_DEP_2) | instskip(NEXT) | instid1(VALU_DEP_1)
	v_lshl_add_u64 v[2:3], s[20:21], 4, v[2:3]
	v_lshl_add_u64 v[28:29], s[18:19], 4, v[2:3]
	flat_load_b128 v[2:5], v[26:27]
	flat_load_b128 v[22:25], v[28:29]
	s_wait_loadcnt_dscnt 0x0
	s_wait_xcnt 0x1
	v_mul_f64_e32 v[26:27], v[24:25], v[4:5]
	v_mul_f64_e32 v[24:25], v[24:25], v[2:3]
	s_delay_alu instid0(VALU_DEP_2) | instskip(NEXT) | instid1(VALU_DEP_2)
	v_fmac_f64_e32 v[26:27], v[22:23], v[2:3]
	v_fma_f64 v[2:3], v[22:23], v[4:5], -v[24:25]
	s_delay_alu instid0(VALU_DEP_2) | instskip(NEXT) | instid1(VALU_DEP_2)
	v_add_f64_e32 v[4:5], 0, v[26:27]
	v_add_f64_e32 v[2:3], 0, v[2:3]
	s_wait_xcnt 0x0
	s_or_b32 exec_lo, exec_lo, s4
	s_and_saveexec_b32 s5, s3
	s_cbranch_execz .LBB95_5
.LBB95_13:                              ;   in Loop: Header=BB95_3 Depth=1
	s_wait_loadcnt 0x0
	v_add_nc_u64_e32 v[12:13], v[12:13], v[10:11]
	v_add_nc_u64_e32 v[14:15], v[14:15], v[8:9]
	v_mov_b32_e32 v22, v0
	s_mov_b32 s30, 0
	s_branch .LBB95_15
.LBB95_14:                              ;   in Loop: Header=BB95_15 Depth=2
	s_wait_xcnt 0x0
	s_or_b32 exec_lo, exec_lo, s31
	v_add_nc_u32_e32 v22, 0x200, v22
	v_add_nc_u64_e32 v[12:13], s[24:25], v[12:13]
	v_add_nc_u64_e32 v[14:15], 0x2000, v[14:15]
	s_delay_alu instid0(VALU_DEP_3) | instskip(SKIP_1) | instid1(SALU_CYCLE_1)
	v_cmp_le_i32_e64 s4, s29, v22
	s_or_b32 s30, s4, s30
	s_and_not1_b32 exec_lo, exec_lo, s30
	s_cbranch_execz .LBB95_20
.LBB95_15:                              ;   Parent Loop BB95_3 Depth=1
                                        ; =>  This Inner Loop Header: Depth=2
	s_mov_b32 s31, exec_lo
	s_delay_alu instid0(VALU_DEP_1)
	v_cmpx_lt_i32_e64 s18, v22
	s_cbranch_execz .LBB95_14
; %bb.16:                               ;   in Loop: Header=BB95_15 Depth=2
	flat_load_b128 v[24:27], v[14:15] offset:-8
	flat_load_b128 v[28:31], v[12:13] offset:-8
	s_wait_loadcnt_dscnt 0x0
	v_mul_f64_e32 v[32:33], v[26:27], v[30:31]
	v_mul_f64_e32 v[26:27], v[26:27], v[28:29]
	s_delay_alu instid0(VALU_DEP_2) | instskip(NEXT) | instid1(VALU_DEP_2)
	v_fmac_f64_e32 v[32:33], v[24:25], v[28:29]
	v_fma_f64 v[24:25], v[24:25], v[30:31], -v[26:27]
	s_delay_alu instid0(VALU_DEP_2) | instskip(NEXT) | instid1(VALU_DEP_2)
	v_add_f64_e32 v[4:5], v[4:5], v[32:33]
	v_add_f64_e32 v[2:3], v[2:3], v[24:25]
	s_branch .LBB95_14
.LBB95_17:                              ;   in Loop: Header=BB95_3 Depth=1
	ds_load_b128 v[2:5], v1
	s_or_b32 exec_lo, exec_lo, s4
	s_and_saveexec_b32 s4, s0
	s_cbranch_execz .LBB95_11
.LBB95_18:                              ;   in Loop: Header=BB95_3 Depth=1
	s_wait_dscnt 0x0
	ds_bpermute_b32 v12, v18, v2
	ds_bpermute_b32 v13, v18, v3
	ds_bpermute_b32 v14, v18, v4
	ds_bpermute_b32 v15, v18, v5
	s_wait_dscnt 0x2
	v_add_f64_e32 v[2:3], v[2:3], v[12:13]
	s_wait_dscnt 0x0
	v_add_f64_e32 v[4:5], v[4:5], v[14:15]
	ds_bpermute_b32 v12, v19, v2
	ds_bpermute_b32 v13, v19, v3
	ds_bpermute_b32 v14, v19, v4
	ds_bpermute_b32 v15, v19, v5
	s_wait_dscnt 0x2
	v_add_f64_e32 v[2:3], v[2:3], v[12:13]
	s_wait_dscnt 0x0
	v_add_f64_e32 v[4:5], v[4:5], v[14:15]
	;; [unrolled: 8-line block ×4, first 2 shown]
	s_or_b32 exec_lo, exec_lo, s4
	s_and_saveexec_b32 s4, vcc_lo
	s_cbranch_execz .LBB95_2
.LBB95_19:                              ;   in Loop: Header=BB95_3 Depth=1
	s_mul_u64 s[30:31], s[6:7], s[16:17]
	s_delay_alu instid0(SALU_CYCLE_1) | instskip(NEXT) | instid1(SALU_CYCLE_1)
	s_lshl_b64 s[30:31], s[30:31], 4
	s_add_nc_u64 s[30:31], s[22:23], s[30:31]
	s_wait_dscnt 0x0
	global_store_b128 v7, v[2:5], s[30:31]
	s_branch .LBB95_2
.LBB95_20:                              ;   in Loop: Header=BB95_3 Depth=1
	s_or_b32 exec_lo, exec_lo, s30
	s_delay_alu instid0(SALU_CYCLE_1)
	s_or_b32 exec_lo, exec_lo, s5
	s_and_saveexec_b32 s4, s0
	s_cbranch_execnz .LBB95_6
	s_branch .LBB95_7
.LBB95_21:
	s_endpgm
	.section	.rodata,"a",@progbits
	.p2align	6, 0x0
	.amdhsa_kernel _ZL20rocblas_trmvt_kernelILi512ELb1ELb1ELb0EPKPK19rocblas_complex_numIdEPKPS1_S6_EviT3_lllT4_lllT5_li
		.amdhsa_group_segment_fixed_size 512
		.amdhsa_private_segment_fixed_size 0
		.amdhsa_kernarg_size 92
		.amdhsa_user_sgpr_count 2
		.amdhsa_user_sgpr_dispatch_ptr 0
		.amdhsa_user_sgpr_queue_ptr 0
		.amdhsa_user_sgpr_kernarg_segment_ptr 1
		.amdhsa_user_sgpr_dispatch_id 0
		.amdhsa_user_sgpr_kernarg_preload_length 0
		.amdhsa_user_sgpr_kernarg_preload_offset 0
		.amdhsa_user_sgpr_private_segment_size 0
		.amdhsa_wavefront_size32 1
		.amdhsa_uses_dynamic_stack 0
		.amdhsa_enable_private_segment 0
		.amdhsa_system_sgpr_workgroup_id_x 1
		.amdhsa_system_sgpr_workgroup_id_y 0
		.amdhsa_system_sgpr_workgroup_id_z 1
		.amdhsa_system_sgpr_workgroup_info 0
		.amdhsa_system_vgpr_workitem_id 0
		.amdhsa_next_free_vgpr 34
		.amdhsa_next_free_sgpr 32
		.amdhsa_named_barrier_count 0
		.amdhsa_reserve_vcc 1
		.amdhsa_float_round_mode_32 0
		.amdhsa_float_round_mode_16_64 0
		.amdhsa_float_denorm_mode_32 3
		.amdhsa_float_denorm_mode_16_64 3
		.amdhsa_fp16_overflow 0
		.amdhsa_memory_ordered 1
		.amdhsa_forward_progress 1
		.amdhsa_inst_pref_size 12
		.amdhsa_round_robin_scheduling 0
		.amdhsa_exception_fp_ieee_invalid_op 0
		.amdhsa_exception_fp_denorm_src 0
		.amdhsa_exception_fp_ieee_div_zero 0
		.amdhsa_exception_fp_ieee_overflow 0
		.amdhsa_exception_fp_ieee_underflow 0
		.amdhsa_exception_fp_ieee_inexact 0
		.amdhsa_exception_int_div_zero 0
	.end_amdhsa_kernel
	.section	.text._ZL20rocblas_trmvt_kernelILi512ELb1ELb1ELb0EPKPK19rocblas_complex_numIdEPKPS1_S6_EviT3_lllT4_lllT5_li,"axG",@progbits,_ZL20rocblas_trmvt_kernelILi512ELb1ELb1ELb0EPKPK19rocblas_complex_numIdEPKPS1_S6_EviT3_lllT4_lllT5_li,comdat
.Lfunc_end95:
	.size	_ZL20rocblas_trmvt_kernelILi512ELb1ELb1ELb0EPKPK19rocblas_complex_numIdEPKPS1_S6_EviT3_lllT4_lllT5_li, .Lfunc_end95-_ZL20rocblas_trmvt_kernelILi512ELb1ELb1ELb0EPKPK19rocblas_complex_numIdEPKPS1_S6_EviT3_lllT4_lllT5_li
                                        ; -- End function
	.set _ZL20rocblas_trmvt_kernelILi512ELb1ELb1ELb0EPKPK19rocblas_complex_numIdEPKPS1_S6_EviT3_lllT4_lllT5_li.num_vgpr, 34
	.set _ZL20rocblas_trmvt_kernelILi512ELb1ELb1ELb0EPKPK19rocblas_complex_numIdEPKPS1_S6_EviT3_lllT4_lllT5_li.num_agpr, 0
	.set _ZL20rocblas_trmvt_kernelILi512ELb1ELb1ELb0EPKPK19rocblas_complex_numIdEPKPS1_S6_EviT3_lllT4_lllT5_li.numbered_sgpr, 32
	.set _ZL20rocblas_trmvt_kernelILi512ELb1ELb1ELb0EPKPK19rocblas_complex_numIdEPKPS1_S6_EviT3_lllT4_lllT5_li.num_named_barrier, 0
	.set _ZL20rocblas_trmvt_kernelILi512ELb1ELb1ELb0EPKPK19rocblas_complex_numIdEPKPS1_S6_EviT3_lllT4_lllT5_li.private_seg_size, 0
	.set _ZL20rocblas_trmvt_kernelILi512ELb1ELb1ELb0EPKPK19rocblas_complex_numIdEPKPS1_S6_EviT3_lllT4_lllT5_li.uses_vcc, 1
	.set _ZL20rocblas_trmvt_kernelILi512ELb1ELb1ELb0EPKPK19rocblas_complex_numIdEPKPS1_S6_EviT3_lllT4_lllT5_li.uses_flat_scratch, 0
	.set _ZL20rocblas_trmvt_kernelILi512ELb1ELb1ELb0EPKPK19rocblas_complex_numIdEPKPS1_S6_EviT3_lllT4_lllT5_li.has_dyn_sized_stack, 0
	.set _ZL20rocblas_trmvt_kernelILi512ELb1ELb1ELb0EPKPK19rocblas_complex_numIdEPKPS1_S6_EviT3_lllT4_lllT5_li.has_recursion, 0
	.set _ZL20rocblas_trmvt_kernelILi512ELb1ELb1ELb0EPKPK19rocblas_complex_numIdEPKPS1_S6_EviT3_lllT4_lllT5_li.has_indirect_call, 0
	.section	.AMDGPU.csdata,"",@progbits
; Kernel info:
; codeLenInByte = 1496
; TotalNumSgprs: 34
; NumVgprs: 34
; ScratchSize: 0
; MemoryBound: 0
; FloatMode: 240
; IeeeMode: 1
; LDSByteSize: 512 bytes/workgroup (compile time only)
; SGPRBlocks: 0
; VGPRBlocks: 2
; NumSGPRsForWavesPerEU: 34
; NumVGPRsForWavesPerEU: 34
; NamedBarCnt: 0
; Occupancy: 16
; WaveLimiterHint : 1
; COMPUTE_PGM_RSRC2:SCRATCH_EN: 0
; COMPUTE_PGM_RSRC2:USER_SGPR: 2
; COMPUTE_PGM_RSRC2:TRAP_HANDLER: 0
; COMPUTE_PGM_RSRC2:TGID_X_EN: 1
; COMPUTE_PGM_RSRC2:TGID_Y_EN: 0
; COMPUTE_PGM_RSRC2:TGID_Z_EN: 1
; COMPUTE_PGM_RSRC2:TIDIG_COMP_CNT: 0
	.section	.AMDGPU.gpr_maximums,"",@progbits
	.set amdgpu.max_num_vgpr, 0
	.set amdgpu.max_num_agpr, 0
	.set amdgpu.max_num_sgpr, 0
	.section	.AMDGPU.csdata,"",@progbits
	.type	__hip_cuid_79e682ab1d1303e3,@object ; @__hip_cuid_79e682ab1d1303e3
	.section	.bss,"aw",@nobits
	.globl	__hip_cuid_79e682ab1d1303e3
__hip_cuid_79e682ab1d1303e3:
	.byte	0                               ; 0x0
	.size	__hip_cuid_79e682ab1d1303e3, 1

	.ident	"AMD clang version 22.0.0git (https://github.com/RadeonOpenCompute/llvm-project roc-7.2.4 26084 f58b06dce1f9c15707c5f808fd002e18c2accf7e)"
	.section	".note.GNU-stack","",@progbits
	.addrsig
	.addrsig_sym __hip_cuid_79e682ab1d1303e3
	.amdgpu_metadata
---
amdhsa.kernels:
  - .args:
      - .offset:         0
        .size:           4
        .value_kind:     by_value
      - .address_space:  global
        .offset:         8
        .size:           8
        .value_kind:     global_buffer
      - .offset:         16
        .size:           8
        .value_kind:     by_value
      - .offset:         24
        .size:           8
        .value_kind:     by_value
      - .offset:         32
        .size:           8
        .value_kind:     by_value
      - .address_space:  global
        .offset:         40
        .size:           8
        .value_kind:     global_buffer
      - .offset:         48
        .size:           8
        .value_kind:     by_value
      - .offset:         56
        .size:           8
        .value_kind:     by_value
      - .offset:         64
        .size:           8
        .value_kind:     by_value
      - .address_space:  global
        .offset:         72
        .size:           8
        .value_kind:     global_buffer
      - .offset:         80
        .size:           8
        .value_kind:     by_value
      - .offset:         88
        .size:           4
        .value_kind:     by_value
      - .offset:         96
        .size:           4
        .value_kind:     hidden_block_count_x
      - .offset:         100
        .size:           4
        .value_kind:     hidden_block_count_y
      - .offset:         104
        .size:           4
        .value_kind:     hidden_block_count_z
      - .offset:         108
        .size:           2
        .value_kind:     hidden_group_size_x
      - .offset:         110
        .size:           2
        .value_kind:     hidden_group_size_y
      - .offset:         112
        .size:           2
        .value_kind:     hidden_group_size_z
      - .offset:         114
        .size:           2
        .value_kind:     hidden_remainder_x
      - .offset:         116
        .size:           2
        .value_kind:     hidden_remainder_y
      - .offset:         118
        .size:           2
        .value_kind:     hidden_remainder_z
      - .offset:         136
        .size:           8
        .value_kind:     hidden_global_offset_x
      - .offset:         144
        .size:           8
        .value_kind:     hidden_global_offset_y
      - .offset:         152
        .size:           8
        .value_kind:     hidden_global_offset_z
      - .offset:         160
        .size:           2
        .value_kind:     hidden_grid_dims
    .group_segment_fixed_size: 4096
    .kernarg_segment_align: 8
    .kernarg_segment_size: 352
    .language:       OpenCL C
    .language_version:
      - 2
      - 0
    .max_flat_workgroup_size: 1024
    .name:           _ZL20rocblas_trmvn_kernelILi64ELi16ELb0ELb1EPKfPfS2_EviT3_lllT4_lllT5_li
    .private_segment_fixed_size: 0
    .sgpr_count:     32
    .sgpr_spill_count: 0
    .symbol:         _ZL20rocblas_trmvn_kernelILi64ELi16ELb0ELb1EPKfPfS2_EviT3_lllT4_lllT5_li.kd
    .uniform_work_group_size: 1
    .uses_dynamic_stack: false
    .vgpr_count:     21
    .vgpr_spill_count: 0
    .wavefront_size: 32
  - .args:
      - .offset:         0
        .size:           4
        .value_kind:     by_value
      - .address_space:  global
        .offset:         8
        .size:           8
        .value_kind:     global_buffer
      - .offset:         16
        .size:           8
        .value_kind:     by_value
      - .offset:         24
        .size:           8
        .value_kind:     by_value
      - .offset:         32
        .size:           8
        .value_kind:     by_value
      - .address_space:  global
        .offset:         40
        .size:           8
        .value_kind:     global_buffer
      - .offset:         48
        .size:           8
        .value_kind:     by_value
      - .offset:         56
        .size:           8
        .value_kind:     by_value
      - .offset:         64
        .size:           8
        .value_kind:     by_value
      - .address_space:  global
        .offset:         72
        .size:           8
        .value_kind:     global_buffer
      - .offset:         80
        .size:           8
        .value_kind:     by_value
      - .offset:         88
        .size:           4
        .value_kind:     by_value
    .group_segment_fixed_size: 128
    .kernarg_segment_align: 8
    .kernarg_segment_size: 92
    .language:       OpenCL C
    .language_version:
      - 2
      - 0
    .max_flat_workgroup_size: 512
    .name:           _ZL20rocblas_trmvt_kernelILi512ELb0ELb0ELb1EPKfPfS2_EviT3_lllT4_lllT5_li
    .private_segment_fixed_size: 0
    .sgpr_count:     32
    .sgpr_spill_count: 0
    .symbol:         _ZL20rocblas_trmvt_kernelILi512ELb0ELb0ELb1EPKfPfS2_EviT3_lllT4_lllT5_li.kd
    .uniform_work_group_size: 1
    .uses_dynamic_stack: false
    .vgpr_count:     21
    .vgpr_spill_count: 0
    .wavefront_size: 32
  - .args:
      - .offset:         0
        .size:           4
        .value_kind:     by_value
      - .address_space:  global
        .offset:         8
        .size:           8
        .value_kind:     global_buffer
      - .offset:         16
        .size:           8
        .value_kind:     by_value
      - .offset:         24
        .size:           8
        .value_kind:     by_value
      - .offset:         32
        .size:           8
        .value_kind:     by_value
      - .address_space:  global
        .offset:         40
        .size:           8
        .value_kind:     global_buffer
      - .offset:         48
        .size:           8
        .value_kind:     by_value
      - .offset:         56
        .size:           8
        .value_kind:     by_value
      - .offset:         64
        .size:           8
        .value_kind:     by_value
      - .address_space:  global
        .offset:         72
        .size:           8
        .value_kind:     global_buffer
      - .offset:         80
        .size:           8
        .value_kind:     by_value
      - .offset:         88
        .size:           4
        .value_kind:     by_value
    .group_segment_fixed_size: 128
    .kernarg_segment_align: 8
    .kernarg_segment_size: 92
    .language:       OpenCL C
    .language_version:
      - 2
      - 0
    .max_flat_workgroup_size: 512
    .name:           _ZL20rocblas_trmvt_kernelILi512ELb0ELb1ELb1EPKfPfS2_EviT3_lllT4_lllT5_li
    .private_segment_fixed_size: 0
    .sgpr_count:     32
    .sgpr_spill_count: 0
    .symbol:         _ZL20rocblas_trmvt_kernelILi512ELb0ELb1ELb1EPKfPfS2_EviT3_lllT4_lllT5_li.kd
    .uniform_work_group_size: 1
    .uses_dynamic_stack: false
    .vgpr_count:     21
    .vgpr_spill_count: 0
    .wavefront_size: 32
  - .args:
      - .offset:         0
        .size:           4
        .value_kind:     by_value
      - .address_space:  global
        .offset:         8
        .size:           8
        .value_kind:     global_buffer
      - .offset:         16
        .size:           8
        .value_kind:     by_value
      - .offset:         24
        .size:           8
        .value_kind:     by_value
      - .offset:         32
        .size:           8
        .value_kind:     by_value
      - .address_space:  global
        .offset:         40
        .size:           8
        .value_kind:     global_buffer
      - .offset:         48
        .size:           8
        .value_kind:     by_value
      - .offset:         56
        .size:           8
        .value_kind:     by_value
      - .offset:         64
        .size:           8
        .value_kind:     by_value
      - .address_space:  global
        .offset:         72
        .size:           8
        .value_kind:     global_buffer
      - .offset:         80
        .size:           8
        .value_kind:     by_value
      - .offset:         88
        .size:           4
        .value_kind:     by_value
      - .offset:         96
        .size:           4
        .value_kind:     hidden_block_count_x
      - .offset:         100
        .size:           4
        .value_kind:     hidden_block_count_y
      - .offset:         104
        .size:           4
        .value_kind:     hidden_block_count_z
      - .offset:         108
        .size:           2
        .value_kind:     hidden_group_size_x
      - .offset:         110
        .size:           2
        .value_kind:     hidden_group_size_y
      - .offset:         112
        .size:           2
        .value_kind:     hidden_group_size_z
      - .offset:         114
        .size:           2
        .value_kind:     hidden_remainder_x
      - .offset:         116
        .size:           2
        .value_kind:     hidden_remainder_y
      - .offset:         118
        .size:           2
        .value_kind:     hidden_remainder_z
      - .offset:         136
        .size:           8
        .value_kind:     hidden_global_offset_x
      - .offset:         144
        .size:           8
        .value_kind:     hidden_global_offset_y
      - .offset:         152
        .size:           8
        .value_kind:     hidden_global_offset_z
      - .offset:         160
        .size:           2
        .value_kind:     hidden_grid_dims
    .group_segment_fixed_size: 4096
    .kernarg_segment_align: 8
    .kernarg_segment_size: 352
    .language:       OpenCL C
    .language_version:
      - 2
      - 0
    .max_flat_workgroup_size: 1024
    .name:           _ZL20rocblas_trmvn_kernelILi64ELi16ELb0ELb0EPKfPfS2_EviT3_lllT4_lllT5_li
    .private_segment_fixed_size: 0
    .sgpr_count:     32
    .sgpr_spill_count: 0
    .symbol:         _ZL20rocblas_trmvn_kernelILi64ELi16ELb0ELb0EPKfPfS2_EviT3_lllT4_lllT5_li.kd
    .uniform_work_group_size: 1
    .uses_dynamic_stack: false
    .vgpr_count:     23
    .vgpr_spill_count: 0
    .wavefront_size: 32
  - .args:
      - .offset:         0
        .size:           4
        .value_kind:     by_value
      - .address_space:  global
        .offset:         8
        .size:           8
        .value_kind:     global_buffer
      - .offset:         16
        .size:           8
        .value_kind:     by_value
      - .offset:         24
        .size:           8
        .value_kind:     by_value
      - .offset:         32
        .size:           8
        .value_kind:     by_value
      - .address_space:  global
        .offset:         40
        .size:           8
        .value_kind:     global_buffer
      - .offset:         48
        .size:           8
        .value_kind:     by_value
      - .offset:         56
        .size:           8
        .value_kind:     by_value
      - .offset:         64
        .size:           8
        .value_kind:     by_value
      - .address_space:  global
        .offset:         72
        .size:           8
        .value_kind:     global_buffer
      - .offset:         80
        .size:           8
        .value_kind:     by_value
      - .offset:         88
        .size:           4
        .value_kind:     by_value
    .group_segment_fixed_size: 128
    .kernarg_segment_align: 8
    .kernarg_segment_size: 92
    .language:       OpenCL C
    .language_version:
      - 2
      - 0
    .max_flat_workgroup_size: 512
    .name:           _ZL20rocblas_trmvt_kernelILi512ELb0ELb0ELb0EPKfPfS2_EviT3_lllT4_lllT5_li
    .private_segment_fixed_size: 0
    .sgpr_count:     34
    .sgpr_spill_count: 0
    .symbol:         _ZL20rocblas_trmvt_kernelILi512ELb0ELb0ELb0EPKfPfS2_EviT3_lllT4_lllT5_li.kd
    .uniform_work_group_size: 1
    .uses_dynamic_stack: false
    .vgpr_count:     23
    .vgpr_spill_count: 0
    .wavefront_size: 32
  - .args:
      - .offset:         0
        .size:           4
        .value_kind:     by_value
      - .address_space:  global
        .offset:         8
        .size:           8
        .value_kind:     global_buffer
      - .offset:         16
        .size:           8
        .value_kind:     by_value
      - .offset:         24
        .size:           8
        .value_kind:     by_value
      - .offset:         32
        .size:           8
        .value_kind:     by_value
      - .address_space:  global
        .offset:         40
        .size:           8
        .value_kind:     global_buffer
      - .offset:         48
        .size:           8
        .value_kind:     by_value
      - .offset:         56
        .size:           8
        .value_kind:     by_value
      - .offset:         64
        .size:           8
        .value_kind:     by_value
      - .address_space:  global
        .offset:         72
        .size:           8
        .value_kind:     global_buffer
      - .offset:         80
        .size:           8
        .value_kind:     by_value
      - .offset:         88
        .size:           4
        .value_kind:     by_value
    .group_segment_fixed_size: 128
    .kernarg_segment_align: 8
    .kernarg_segment_size: 92
    .language:       OpenCL C
    .language_version:
      - 2
      - 0
    .max_flat_workgroup_size: 512
    .name:           _ZL20rocblas_trmvt_kernelILi512ELb0ELb1ELb0EPKfPfS2_EviT3_lllT4_lllT5_li
    .private_segment_fixed_size: 0
    .sgpr_count:     34
    .sgpr_spill_count: 0
    .symbol:         _ZL20rocblas_trmvt_kernelILi512ELb0ELb1ELb0EPKfPfS2_EviT3_lllT4_lllT5_li.kd
    .uniform_work_group_size: 1
    .uses_dynamic_stack: false
    .vgpr_count:     23
    .vgpr_spill_count: 0
    .wavefront_size: 32
  - .args:
      - .offset:         0
        .size:           4
        .value_kind:     by_value
      - .address_space:  global
        .offset:         8
        .size:           8
        .value_kind:     global_buffer
      - .offset:         16
        .size:           8
        .value_kind:     by_value
      - .offset:         24
        .size:           8
        .value_kind:     by_value
      - .offset:         32
        .size:           8
        .value_kind:     by_value
      - .address_space:  global
        .offset:         40
        .size:           8
        .value_kind:     global_buffer
      - .offset:         48
        .size:           8
        .value_kind:     by_value
      - .offset:         56
        .size:           8
        .value_kind:     by_value
      - .offset:         64
        .size:           8
        .value_kind:     by_value
      - .address_space:  global
        .offset:         72
        .size:           8
        .value_kind:     global_buffer
      - .offset:         80
        .size:           8
        .value_kind:     by_value
      - .offset:         88
        .size:           4
        .value_kind:     by_value
      - .offset:         96
        .size:           4
        .value_kind:     hidden_block_count_x
      - .offset:         100
        .size:           4
        .value_kind:     hidden_block_count_y
      - .offset:         104
        .size:           4
        .value_kind:     hidden_block_count_z
      - .offset:         108
        .size:           2
        .value_kind:     hidden_group_size_x
      - .offset:         110
        .size:           2
        .value_kind:     hidden_group_size_y
      - .offset:         112
        .size:           2
        .value_kind:     hidden_group_size_z
      - .offset:         114
        .size:           2
        .value_kind:     hidden_remainder_x
      - .offset:         116
        .size:           2
        .value_kind:     hidden_remainder_y
      - .offset:         118
        .size:           2
        .value_kind:     hidden_remainder_z
      - .offset:         136
        .size:           8
        .value_kind:     hidden_global_offset_x
      - .offset:         144
        .size:           8
        .value_kind:     hidden_global_offset_y
      - .offset:         152
        .size:           8
        .value_kind:     hidden_global_offset_z
      - .offset:         160
        .size:           2
        .value_kind:     hidden_grid_dims
    .group_segment_fixed_size: 4096
    .kernarg_segment_align: 8
    .kernarg_segment_size: 352
    .language:       OpenCL C
    .language_version:
      - 2
      - 0
    .max_flat_workgroup_size: 1024
    .name:           _ZL20rocblas_trmvn_kernelILi64ELi16ELb1ELb1EPKfPfS2_EviT3_lllT4_lllT5_li
    .private_segment_fixed_size: 0
    .sgpr_count:     32
    .sgpr_spill_count: 0
    .symbol:         _ZL20rocblas_trmvn_kernelILi64ELi16ELb1ELb1EPKfPfS2_EviT3_lllT4_lllT5_li.kd
    .uniform_work_group_size: 1
    .uses_dynamic_stack: false
    .vgpr_count:     21
    .vgpr_spill_count: 0
    .wavefront_size: 32
  - .args:
      - .offset:         0
        .size:           4
        .value_kind:     by_value
      - .address_space:  global
        .offset:         8
        .size:           8
        .value_kind:     global_buffer
      - .offset:         16
        .size:           8
        .value_kind:     by_value
      - .offset:         24
        .size:           8
        .value_kind:     by_value
      - .offset:         32
        .size:           8
        .value_kind:     by_value
      - .address_space:  global
        .offset:         40
        .size:           8
        .value_kind:     global_buffer
      - .offset:         48
        .size:           8
        .value_kind:     by_value
      - .offset:         56
        .size:           8
        .value_kind:     by_value
      - .offset:         64
        .size:           8
        .value_kind:     by_value
      - .address_space:  global
        .offset:         72
        .size:           8
        .value_kind:     global_buffer
      - .offset:         80
        .size:           8
        .value_kind:     by_value
      - .offset:         88
        .size:           4
        .value_kind:     by_value
    .group_segment_fixed_size: 128
    .kernarg_segment_align: 8
    .kernarg_segment_size: 92
    .language:       OpenCL C
    .language_version:
      - 2
      - 0
    .max_flat_workgroup_size: 512
    .name:           _ZL20rocblas_trmvt_kernelILi512ELb1ELb0ELb1EPKfPfS2_EviT3_lllT4_lllT5_li
    .private_segment_fixed_size: 0
    .sgpr_count:     32
    .sgpr_spill_count: 0
    .symbol:         _ZL20rocblas_trmvt_kernelILi512ELb1ELb0ELb1EPKfPfS2_EviT3_lllT4_lllT5_li.kd
    .uniform_work_group_size: 1
    .uses_dynamic_stack: false
    .vgpr_count:     21
    .vgpr_spill_count: 0
    .wavefront_size: 32
  - .args:
      - .offset:         0
        .size:           4
        .value_kind:     by_value
      - .address_space:  global
        .offset:         8
        .size:           8
        .value_kind:     global_buffer
      - .offset:         16
        .size:           8
        .value_kind:     by_value
      - .offset:         24
        .size:           8
        .value_kind:     by_value
      - .offset:         32
        .size:           8
        .value_kind:     by_value
      - .address_space:  global
        .offset:         40
        .size:           8
        .value_kind:     global_buffer
      - .offset:         48
        .size:           8
        .value_kind:     by_value
      - .offset:         56
        .size:           8
        .value_kind:     by_value
      - .offset:         64
        .size:           8
        .value_kind:     by_value
      - .address_space:  global
        .offset:         72
        .size:           8
        .value_kind:     global_buffer
      - .offset:         80
        .size:           8
        .value_kind:     by_value
      - .offset:         88
        .size:           4
        .value_kind:     by_value
    .group_segment_fixed_size: 128
    .kernarg_segment_align: 8
    .kernarg_segment_size: 92
    .language:       OpenCL C
    .language_version:
      - 2
      - 0
    .max_flat_workgroup_size: 512
    .name:           _ZL20rocblas_trmvt_kernelILi512ELb1ELb1ELb1EPKfPfS2_EviT3_lllT4_lllT5_li
    .private_segment_fixed_size: 0
    .sgpr_count:     32
    .sgpr_spill_count: 0
    .symbol:         _ZL20rocblas_trmvt_kernelILi512ELb1ELb1ELb1EPKfPfS2_EviT3_lllT4_lllT5_li.kd
    .uniform_work_group_size: 1
    .uses_dynamic_stack: false
    .vgpr_count:     21
    .vgpr_spill_count: 0
    .wavefront_size: 32
  - .args:
      - .offset:         0
        .size:           4
        .value_kind:     by_value
      - .address_space:  global
        .offset:         8
        .size:           8
        .value_kind:     global_buffer
      - .offset:         16
        .size:           8
        .value_kind:     by_value
      - .offset:         24
        .size:           8
        .value_kind:     by_value
      - .offset:         32
        .size:           8
        .value_kind:     by_value
      - .address_space:  global
        .offset:         40
        .size:           8
        .value_kind:     global_buffer
      - .offset:         48
        .size:           8
        .value_kind:     by_value
      - .offset:         56
        .size:           8
        .value_kind:     by_value
      - .offset:         64
        .size:           8
        .value_kind:     by_value
      - .address_space:  global
        .offset:         72
        .size:           8
        .value_kind:     global_buffer
      - .offset:         80
        .size:           8
        .value_kind:     by_value
      - .offset:         88
        .size:           4
        .value_kind:     by_value
      - .offset:         96
        .size:           4
        .value_kind:     hidden_block_count_x
      - .offset:         100
        .size:           4
        .value_kind:     hidden_block_count_y
      - .offset:         104
        .size:           4
        .value_kind:     hidden_block_count_z
      - .offset:         108
        .size:           2
        .value_kind:     hidden_group_size_x
      - .offset:         110
        .size:           2
        .value_kind:     hidden_group_size_y
      - .offset:         112
        .size:           2
        .value_kind:     hidden_group_size_z
      - .offset:         114
        .size:           2
        .value_kind:     hidden_remainder_x
      - .offset:         116
        .size:           2
        .value_kind:     hidden_remainder_y
      - .offset:         118
        .size:           2
        .value_kind:     hidden_remainder_z
      - .offset:         136
        .size:           8
        .value_kind:     hidden_global_offset_x
      - .offset:         144
        .size:           8
        .value_kind:     hidden_global_offset_y
      - .offset:         152
        .size:           8
        .value_kind:     hidden_global_offset_z
      - .offset:         160
        .size:           2
        .value_kind:     hidden_grid_dims
    .group_segment_fixed_size: 4096
    .kernarg_segment_align: 8
    .kernarg_segment_size: 352
    .language:       OpenCL C
    .language_version:
      - 2
      - 0
    .max_flat_workgroup_size: 1024
    .name:           _ZL20rocblas_trmvn_kernelILi64ELi16ELb1ELb0EPKfPfS2_EviT3_lllT4_lllT5_li
    .private_segment_fixed_size: 0
    .sgpr_count:     32
    .sgpr_spill_count: 0
    .symbol:         _ZL20rocblas_trmvn_kernelILi64ELi16ELb1ELb0EPKfPfS2_EviT3_lllT4_lllT5_li.kd
    .uniform_work_group_size: 1
    .uses_dynamic_stack: false
    .vgpr_count:     23
    .vgpr_spill_count: 0
    .wavefront_size: 32
  - .args:
      - .offset:         0
        .size:           4
        .value_kind:     by_value
      - .address_space:  global
        .offset:         8
        .size:           8
        .value_kind:     global_buffer
      - .offset:         16
        .size:           8
        .value_kind:     by_value
      - .offset:         24
        .size:           8
        .value_kind:     by_value
      - .offset:         32
        .size:           8
        .value_kind:     by_value
      - .address_space:  global
        .offset:         40
        .size:           8
        .value_kind:     global_buffer
      - .offset:         48
        .size:           8
        .value_kind:     by_value
      - .offset:         56
        .size:           8
        .value_kind:     by_value
      - .offset:         64
        .size:           8
        .value_kind:     by_value
      - .address_space:  global
        .offset:         72
        .size:           8
        .value_kind:     global_buffer
      - .offset:         80
        .size:           8
        .value_kind:     by_value
      - .offset:         88
        .size:           4
        .value_kind:     by_value
    .group_segment_fixed_size: 128
    .kernarg_segment_align: 8
    .kernarg_segment_size: 92
    .language:       OpenCL C
    .language_version:
      - 2
      - 0
    .max_flat_workgroup_size: 512
    .name:           _ZL20rocblas_trmvt_kernelILi512ELb1ELb0ELb0EPKfPfS2_EviT3_lllT4_lllT5_li
    .private_segment_fixed_size: 0
    .sgpr_count:     34
    .sgpr_spill_count: 0
    .symbol:         _ZL20rocblas_trmvt_kernelILi512ELb1ELb0ELb0EPKfPfS2_EviT3_lllT4_lllT5_li.kd
    .uniform_work_group_size: 1
    .uses_dynamic_stack: false
    .vgpr_count:     23
    .vgpr_spill_count: 0
    .wavefront_size: 32
  - .args:
      - .offset:         0
        .size:           4
        .value_kind:     by_value
      - .address_space:  global
        .offset:         8
        .size:           8
        .value_kind:     global_buffer
      - .offset:         16
        .size:           8
        .value_kind:     by_value
      - .offset:         24
        .size:           8
        .value_kind:     by_value
      - .offset:         32
        .size:           8
        .value_kind:     by_value
      - .address_space:  global
        .offset:         40
        .size:           8
        .value_kind:     global_buffer
      - .offset:         48
        .size:           8
        .value_kind:     by_value
      - .offset:         56
        .size:           8
        .value_kind:     by_value
      - .offset:         64
        .size:           8
        .value_kind:     by_value
      - .address_space:  global
        .offset:         72
        .size:           8
        .value_kind:     global_buffer
      - .offset:         80
        .size:           8
        .value_kind:     by_value
      - .offset:         88
        .size:           4
        .value_kind:     by_value
    .group_segment_fixed_size: 128
    .kernarg_segment_align: 8
    .kernarg_segment_size: 92
    .language:       OpenCL C
    .language_version:
      - 2
      - 0
    .max_flat_workgroup_size: 512
    .name:           _ZL20rocblas_trmvt_kernelILi512ELb1ELb1ELb0EPKfPfS2_EviT3_lllT4_lllT5_li
    .private_segment_fixed_size: 0
    .sgpr_count:     34
    .sgpr_spill_count: 0
    .symbol:         _ZL20rocblas_trmvt_kernelILi512ELb1ELb1ELb0EPKfPfS2_EviT3_lllT4_lllT5_li.kd
    .uniform_work_group_size: 1
    .uses_dynamic_stack: false
    .vgpr_count:     23
    .vgpr_spill_count: 0
    .wavefront_size: 32
  - .args:
      - .offset:         0
        .size:           4
        .value_kind:     by_value
      - .address_space:  global
        .offset:         8
        .size:           8
        .value_kind:     global_buffer
      - .offset:         16
        .size:           8
        .value_kind:     by_value
      - .offset:         24
        .size:           8
        .value_kind:     by_value
      - .offset:         32
        .size:           8
        .value_kind:     by_value
      - .address_space:  global
        .offset:         40
        .size:           8
        .value_kind:     global_buffer
      - .offset:         48
        .size:           8
        .value_kind:     by_value
      - .offset:         56
        .size:           8
        .value_kind:     by_value
      - .offset:         64
        .size:           8
        .value_kind:     by_value
      - .address_space:  global
        .offset:         72
        .size:           8
        .value_kind:     global_buffer
      - .offset:         80
        .size:           8
        .value_kind:     by_value
      - .offset:         88
        .size:           4
        .value_kind:     by_value
      - .offset:         96
        .size:           4
        .value_kind:     hidden_block_count_x
      - .offset:         100
        .size:           4
        .value_kind:     hidden_block_count_y
      - .offset:         104
        .size:           4
        .value_kind:     hidden_block_count_z
      - .offset:         108
        .size:           2
        .value_kind:     hidden_group_size_x
      - .offset:         110
        .size:           2
        .value_kind:     hidden_group_size_y
      - .offset:         112
        .size:           2
        .value_kind:     hidden_group_size_z
      - .offset:         114
        .size:           2
        .value_kind:     hidden_remainder_x
      - .offset:         116
        .size:           2
        .value_kind:     hidden_remainder_y
      - .offset:         118
        .size:           2
        .value_kind:     hidden_remainder_z
      - .offset:         136
        .size:           8
        .value_kind:     hidden_global_offset_x
      - .offset:         144
        .size:           8
        .value_kind:     hidden_global_offset_y
      - .offset:         152
        .size:           8
        .value_kind:     hidden_global_offset_z
      - .offset:         160
        .size:           2
        .value_kind:     hidden_grid_dims
    .group_segment_fixed_size: 8192
    .kernarg_segment_align: 8
    .kernarg_segment_size: 352
    .language:       OpenCL C
    .language_version:
      - 2
      - 0
    .max_flat_workgroup_size: 1024
    .name:           _ZL20rocblas_trmvn_kernelILi64ELi16ELb0ELb1EPKdPdS2_EviT3_lllT4_lllT5_li
    .private_segment_fixed_size: 0
    .sgpr_count:     32
    .sgpr_spill_count: 0
    .symbol:         _ZL20rocblas_trmvn_kernelILi64ELi16ELb0ELb1EPKdPdS2_EviT3_lllT4_lllT5_li.kd
    .uniform_work_group_size: 1
    .uses_dynamic_stack: false
    .vgpr_count:     24
    .vgpr_spill_count: 0
    .wavefront_size: 32
  - .args:
      - .offset:         0
        .size:           4
        .value_kind:     by_value
      - .address_space:  global
        .offset:         8
        .size:           8
        .value_kind:     global_buffer
      - .offset:         16
        .size:           8
        .value_kind:     by_value
      - .offset:         24
        .size:           8
        .value_kind:     by_value
      - .offset:         32
        .size:           8
        .value_kind:     by_value
      - .address_space:  global
        .offset:         40
        .size:           8
        .value_kind:     global_buffer
      - .offset:         48
        .size:           8
        .value_kind:     by_value
      - .offset:         56
        .size:           8
        .value_kind:     by_value
      - .offset:         64
        .size:           8
        .value_kind:     by_value
      - .address_space:  global
        .offset:         72
        .size:           8
        .value_kind:     global_buffer
      - .offset:         80
        .size:           8
        .value_kind:     by_value
      - .offset:         88
        .size:           4
        .value_kind:     by_value
    .group_segment_fixed_size: 256
    .kernarg_segment_align: 8
    .kernarg_segment_size: 92
    .language:       OpenCL C
    .language_version:
      - 2
      - 0
    .max_flat_workgroup_size: 512
    .name:           _ZL20rocblas_trmvt_kernelILi512ELb0ELb0ELb1EPKdPdS2_EviT3_lllT4_lllT5_li
    .private_segment_fixed_size: 0
    .sgpr_count:     32
    .sgpr_spill_count: 0
    .symbol:         _ZL20rocblas_trmvt_kernelILi512ELb0ELb0ELb1EPKdPdS2_EviT3_lllT4_lllT5_li.kd
    .uniform_work_group_size: 1
    .uses_dynamic_stack: false
    .vgpr_count:     26
    .vgpr_spill_count: 0
    .wavefront_size: 32
  - .args:
      - .offset:         0
        .size:           4
        .value_kind:     by_value
      - .address_space:  global
        .offset:         8
        .size:           8
        .value_kind:     global_buffer
      - .offset:         16
        .size:           8
        .value_kind:     by_value
      - .offset:         24
        .size:           8
        .value_kind:     by_value
      - .offset:         32
        .size:           8
        .value_kind:     by_value
      - .address_space:  global
        .offset:         40
        .size:           8
        .value_kind:     global_buffer
      - .offset:         48
        .size:           8
        .value_kind:     by_value
      - .offset:         56
        .size:           8
        .value_kind:     by_value
      - .offset:         64
        .size:           8
        .value_kind:     by_value
      - .address_space:  global
        .offset:         72
        .size:           8
        .value_kind:     global_buffer
      - .offset:         80
        .size:           8
        .value_kind:     by_value
      - .offset:         88
        .size:           4
        .value_kind:     by_value
    .group_segment_fixed_size: 256
    .kernarg_segment_align: 8
    .kernarg_segment_size: 92
    .language:       OpenCL C
    .language_version:
      - 2
      - 0
    .max_flat_workgroup_size: 512
    .name:           _ZL20rocblas_trmvt_kernelILi512ELb0ELb1ELb1EPKdPdS2_EviT3_lllT4_lllT5_li
    .private_segment_fixed_size: 0
    .sgpr_count:     32
    .sgpr_spill_count: 0
    .symbol:         _ZL20rocblas_trmvt_kernelILi512ELb0ELb1ELb1EPKdPdS2_EviT3_lllT4_lllT5_li.kd
    .uniform_work_group_size: 1
    .uses_dynamic_stack: false
    .vgpr_count:     26
    .vgpr_spill_count: 0
    .wavefront_size: 32
  - .args:
      - .offset:         0
        .size:           4
        .value_kind:     by_value
      - .address_space:  global
        .offset:         8
        .size:           8
        .value_kind:     global_buffer
      - .offset:         16
        .size:           8
        .value_kind:     by_value
      - .offset:         24
        .size:           8
        .value_kind:     by_value
      - .offset:         32
        .size:           8
        .value_kind:     by_value
      - .address_space:  global
        .offset:         40
        .size:           8
        .value_kind:     global_buffer
      - .offset:         48
        .size:           8
        .value_kind:     by_value
      - .offset:         56
        .size:           8
        .value_kind:     by_value
      - .offset:         64
        .size:           8
        .value_kind:     by_value
      - .address_space:  global
        .offset:         72
        .size:           8
        .value_kind:     global_buffer
      - .offset:         80
        .size:           8
        .value_kind:     by_value
      - .offset:         88
        .size:           4
        .value_kind:     by_value
      - .offset:         96
        .size:           4
        .value_kind:     hidden_block_count_x
      - .offset:         100
        .size:           4
        .value_kind:     hidden_block_count_y
      - .offset:         104
        .size:           4
        .value_kind:     hidden_block_count_z
      - .offset:         108
        .size:           2
        .value_kind:     hidden_group_size_x
      - .offset:         110
        .size:           2
        .value_kind:     hidden_group_size_y
      - .offset:         112
        .size:           2
        .value_kind:     hidden_group_size_z
      - .offset:         114
        .size:           2
        .value_kind:     hidden_remainder_x
      - .offset:         116
        .size:           2
        .value_kind:     hidden_remainder_y
      - .offset:         118
        .size:           2
        .value_kind:     hidden_remainder_z
      - .offset:         136
        .size:           8
        .value_kind:     hidden_global_offset_x
      - .offset:         144
        .size:           8
        .value_kind:     hidden_global_offset_y
      - .offset:         152
        .size:           8
        .value_kind:     hidden_global_offset_z
      - .offset:         160
        .size:           2
        .value_kind:     hidden_grid_dims
    .group_segment_fixed_size: 8192
    .kernarg_segment_align: 8
    .kernarg_segment_size: 352
    .language:       OpenCL C
    .language_version:
      - 2
      - 0
    .max_flat_workgroup_size: 1024
    .name:           _ZL20rocblas_trmvn_kernelILi64ELi16ELb0ELb0EPKdPdS2_EviT3_lllT4_lllT5_li
    .private_segment_fixed_size: 0
    .sgpr_count:     32
    .sgpr_spill_count: 0
    .symbol:         _ZL20rocblas_trmvn_kernelILi64ELi16ELb0ELb0EPKdPdS2_EviT3_lllT4_lllT5_li.kd
    .uniform_work_group_size: 1
    .uses_dynamic_stack: false
    .vgpr_count:     26
    .vgpr_spill_count: 0
    .wavefront_size: 32
  - .args:
      - .offset:         0
        .size:           4
        .value_kind:     by_value
      - .address_space:  global
        .offset:         8
        .size:           8
        .value_kind:     global_buffer
      - .offset:         16
        .size:           8
        .value_kind:     by_value
      - .offset:         24
        .size:           8
        .value_kind:     by_value
      - .offset:         32
        .size:           8
        .value_kind:     by_value
      - .address_space:  global
        .offset:         40
        .size:           8
        .value_kind:     global_buffer
      - .offset:         48
        .size:           8
        .value_kind:     by_value
      - .offset:         56
        .size:           8
        .value_kind:     by_value
      - .offset:         64
        .size:           8
        .value_kind:     by_value
      - .address_space:  global
        .offset:         72
        .size:           8
        .value_kind:     global_buffer
      - .offset:         80
        .size:           8
        .value_kind:     by_value
      - .offset:         88
        .size:           4
        .value_kind:     by_value
    .group_segment_fixed_size: 256
    .kernarg_segment_align: 8
    .kernarg_segment_size: 92
    .language:       OpenCL C
    .language_version:
      - 2
      - 0
    .max_flat_workgroup_size: 512
    .name:           _ZL20rocblas_trmvt_kernelILi512ELb0ELb0ELb0EPKdPdS2_EviT3_lllT4_lllT5_li
    .private_segment_fixed_size: 0
    .sgpr_count:     34
    .sgpr_spill_count: 0
    .symbol:         _ZL20rocblas_trmvt_kernelILi512ELb0ELb0ELb0EPKdPdS2_EviT3_lllT4_lllT5_li.kd
    .uniform_work_group_size: 1
    .uses_dynamic_stack: false
    .vgpr_count:     28
    .vgpr_spill_count: 0
    .wavefront_size: 32
  - .args:
      - .offset:         0
        .size:           4
        .value_kind:     by_value
      - .address_space:  global
        .offset:         8
        .size:           8
        .value_kind:     global_buffer
      - .offset:         16
        .size:           8
        .value_kind:     by_value
      - .offset:         24
        .size:           8
        .value_kind:     by_value
      - .offset:         32
        .size:           8
        .value_kind:     by_value
      - .address_space:  global
        .offset:         40
        .size:           8
        .value_kind:     global_buffer
      - .offset:         48
        .size:           8
        .value_kind:     by_value
      - .offset:         56
        .size:           8
        .value_kind:     by_value
      - .offset:         64
        .size:           8
        .value_kind:     by_value
      - .address_space:  global
        .offset:         72
        .size:           8
        .value_kind:     global_buffer
      - .offset:         80
        .size:           8
        .value_kind:     by_value
      - .offset:         88
        .size:           4
        .value_kind:     by_value
    .group_segment_fixed_size: 256
    .kernarg_segment_align: 8
    .kernarg_segment_size: 92
    .language:       OpenCL C
    .language_version:
      - 2
      - 0
    .max_flat_workgroup_size: 512
    .name:           _ZL20rocblas_trmvt_kernelILi512ELb0ELb1ELb0EPKdPdS2_EviT3_lllT4_lllT5_li
    .private_segment_fixed_size: 0
    .sgpr_count:     34
    .sgpr_spill_count: 0
    .symbol:         _ZL20rocblas_trmvt_kernelILi512ELb0ELb1ELb0EPKdPdS2_EviT3_lllT4_lllT5_li.kd
    .uniform_work_group_size: 1
    .uses_dynamic_stack: false
    .vgpr_count:     28
    .vgpr_spill_count: 0
    .wavefront_size: 32
  - .args:
      - .offset:         0
        .size:           4
        .value_kind:     by_value
      - .address_space:  global
        .offset:         8
        .size:           8
        .value_kind:     global_buffer
      - .offset:         16
        .size:           8
        .value_kind:     by_value
      - .offset:         24
        .size:           8
        .value_kind:     by_value
      - .offset:         32
        .size:           8
        .value_kind:     by_value
      - .address_space:  global
        .offset:         40
        .size:           8
        .value_kind:     global_buffer
      - .offset:         48
        .size:           8
        .value_kind:     by_value
      - .offset:         56
        .size:           8
        .value_kind:     by_value
      - .offset:         64
        .size:           8
        .value_kind:     by_value
      - .address_space:  global
        .offset:         72
        .size:           8
        .value_kind:     global_buffer
      - .offset:         80
        .size:           8
        .value_kind:     by_value
      - .offset:         88
        .size:           4
        .value_kind:     by_value
      - .offset:         96
        .size:           4
        .value_kind:     hidden_block_count_x
      - .offset:         100
        .size:           4
        .value_kind:     hidden_block_count_y
      - .offset:         104
        .size:           4
        .value_kind:     hidden_block_count_z
      - .offset:         108
        .size:           2
        .value_kind:     hidden_group_size_x
      - .offset:         110
        .size:           2
        .value_kind:     hidden_group_size_y
      - .offset:         112
        .size:           2
        .value_kind:     hidden_group_size_z
      - .offset:         114
        .size:           2
        .value_kind:     hidden_remainder_x
      - .offset:         116
        .size:           2
        .value_kind:     hidden_remainder_y
      - .offset:         118
        .size:           2
        .value_kind:     hidden_remainder_z
      - .offset:         136
        .size:           8
        .value_kind:     hidden_global_offset_x
      - .offset:         144
        .size:           8
        .value_kind:     hidden_global_offset_y
      - .offset:         152
        .size:           8
        .value_kind:     hidden_global_offset_z
      - .offset:         160
        .size:           2
        .value_kind:     hidden_grid_dims
    .group_segment_fixed_size: 8192
    .kernarg_segment_align: 8
    .kernarg_segment_size: 352
    .language:       OpenCL C
    .language_version:
      - 2
      - 0
    .max_flat_workgroup_size: 1024
    .name:           _ZL20rocblas_trmvn_kernelILi64ELi16ELb1ELb1EPKdPdS2_EviT3_lllT4_lllT5_li
    .private_segment_fixed_size: 0
    .sgpr_count:     32
    .sgpr_spill_count: 0
    .symbol:         _ZL20rocblas_trmvn_kernelILi64ELi16ELb1ELb1EPKdPdS2_EviT3_lllT4_lllT5_li.kd
    .uniform_work_group_size: 1
    .uses_dynamic_stack: false
    .vgpr_count:     24
    .vgpr_spill_count: 0
    .wavefront_size: 32
  - .args:
      - .offset:         0
        .size:           4
        .value_kind:     by_value
      - .address_space:  global
        .offset:         8
        .size:           8
        .value_kind:     global_buffer
      - .offset:         16
        .size:           8
        .value_kind:     by_value
      - .offset:         24
        .size:           8
        .value_kind:     by_value
      - .offset:         32
        .size:           8
        .value_kind:     by_value
      - .address_space:  global
        .offset:         40
        .size:           8
        .value_kind:     global_buffer
      - .offset:         48
        .size:           8
        .value_kind:     by_value
      - .offset:         56
        .size:           8
        .value_kind:     by_value
      - .offset:         64
        .size:           8
        .value_kind:     by_value
      - .address_space:  global
        .offset:         72
        .size:           8
        .value_kind:     global_buffer
      - .offset:         80
        .size:           8
        .value_kind:     by_value
      - .offset:         88
        .size:           4
        .value_kind:     by_value
    .group_segment_fixed_size: 256
    .kernarg_segment_align: 8
    .kernarg_segment_size: 92
    .language:       OpenCL C
    .language_version:
      - 2
      - 0
    .max_flat_workgroup_size: 512
    .name:           _ZL20rocblas_trmvt_kernelILi512ELb1ELb0ELb1EPKdPdS2_EviT3_lllT4_lllT5_li
    .private_segment_fixed_size: 0
    .sgpr_count:     32
    .sgpr_spill_count: 0
    .symbol:         _ZL20rocblas_trmvt_kernelILi512ELb1ELb0ELb1EPKdPdS2_EviT3_lllT4_lllT5_li.kd
    .uniform_work_group_size: 1
    .uses_dynamic_stack: false
    .vgpr_count:     26
    .vgpr_spill_count: 0
    .wavefront_size: 32
  - .args:
      - .offset:         0
        .size:           4
        .value_kind:     by_value
      - .address_space:  global
        .offset:         8
        .size:           8
        .value_kind:     global_buffer
      - .offset:         16
        .size:           8
        .value_kind:     by_value
      - .offset:         24
        .size:           8
        .value_kind:     by_value
      - .offset:         32
        .size:           8
        .value_kind:     by_value
      - .address_space:  global
        .offset:         40
        .size:           8
        .value_kind:     global_buffer
      - .offset:         48
        .size:           8
        .value_kind:     by_value
      - .offset:         56
        .size:           8
        .value_kind:     by_value
      - .offset:         64
        .size:           8
        .value_kind:     by_value
      - .address_space:  global
        .offset:         72
        .size:           8
        .value_kind:     global_buffer
      - .offset:         80
        .size:           8
        .value_kind:     by_value
      - .offset:         88
        .size:           4
        .value_kind:     by_value
    .group_segment_fixed_size: 256
    .kernarg_segment_align: 8
    .kernarg_segment_size: 92
    .language:       OpenCL C
    .language_version:
      - 2
      - 0
    .max_flat_workgroup_size: 512
    .name:           _ZL20rocblas_trmvt_kernelILi512ELb1ELb1ELb1EPKdPdS2_EviT3_lllT4_lllT5_li
    .private_segment_fixed_size: 0
    .sgpr_count:     32
    .sgpr_spill_count: 0
    .symbol:         _ZL20rocblas_trmvt_kernelILi512ELb1ELb1ELb1EPKdPdS2_EviT3_lllT4_lllT5_li.kd
    .uniform_work_group_size: 1
    .uses_dynamic_stack: false
    .vgpr_count:     26
    .vgpr_spill_count: 0
    .wavefront_size: 32
  - .args:
      - .offset:         0
        .size:           4
        .value_kind:     by_value
      - .address_space:  global
        .offset:         8
        .size:           8
        .value_kind:     global_buffer
      - .offset:         16
        .size:           8
        .value_kind:     by_value
      - .offset:         24
        .size:           8
        .value_kind:     by_value
      - .offset:         32
        .size:           8
        .value_kind:     by_value
      - .address_space:  global
        .offset:         40
        .size:           8
        .value_kind:     global_buffer
      - .offset:         48
        .size:           8
        .value_kind:     by_value
      - .offset:         56
        .size:           8
        .value_kind:     by_value
      - .offset:         64
        .size:           8
        .value_kind:     by_value
      - .address_space:  global
        .offset:         72
        .size:           8
        .value_kind:     global_buffer
      - .offset:         80
        .size:           8
        .value_kind:     by_value
      - .offset:         88
        .size:           4
        .value_kind:     by_value
      - .offset:         96
        .size:           4
        .value_kind:     hidden_block_count_x
      - .offset:         100
        .size:           4
        .value_kind:     hidden_block_count_y
      - .offset:         104
        .size:           4
        .value_kind:     hidden_block_count_z
      - .offset:         108
        .size:           2
        .value_kind:     hidden_group_size_x
      - .offset:         110
        .size:           2
        .value_kind:     hidden_group_size_y
      - .offset:         112
        .size:           2
        .value_kind:     hidden_group_size_z
      - .offset:         114
        .size:           2
        .value_kind:     hidden_remainder_x
      - .offset:         116
        .size:           2
        .value_kind:     hidden_remainder_y
      - .offset:         118
        .size:           2
        .value_kind:     hidden_remainder_z
      - .offset:         136
        .size:           8
        .value_kind:     hidden_global_offset_x
      - .offset:         144
        .size:           8
        .value_kind:     hidden_global_offset_y
      - .offset:         152
        .size:           8
        .value_kind:     hidden_global_offset_z
      - .offset:         160
        .size:           2
        .value_kind:     hidden_grid_dims
    .group_segment_fixed_size: 8192
    .kernarg_segment_align: 8
    .kernarg_segment_size: 352
    .language:       OpenCL C
    .language_version:
      - 2
      - 0
    .max_flat_workgroup_size: 1024
    .name:           _ZL20rocblas_trmvn_kernelILi64ELi16ELb1ELb0EPKdPdS2_EviT3_lllT4_lllT5_li
    .private_segment_fixed_size: 0
    .sgpr_count:     32
    .sgpr_spill_count: 0
    .symbol:         _ZL20rocblas_trmvn_kernelILi64ELi16ELb1ELb0EPKdPdS2_EviT3_lllT4_lllT5_li.kd
    .uniform_work_group_size: 1
    .uses_dynamic_stack: false
    .vgpr_count:     26
    .vgpr_spill_count: 0
    .wavefront_size: 32
  - .args:
      - .offset:         0
        .size:           4
        .value_kind:     by_value
      - .address_space:  global
        .offset:         8
        .size:           8
        .value_kind:     global_buffer
      - .offset:         16
        .size:           8
        .value_kind:     by_value
      - .offset:         24
        .size:           8
        .value_kind:     by_value
      - .offset:         32
        .size:           8
        .value_kind:     by_value
      - .address_space:  global
        .offset:         40
        .size:           8
        .value_kind:     global_buffer
      - .offset:         48
        .size:           8
        .value_kind:     by_value
      - .offset:         56
        .size:           8
        .value_kind:     by_value
      - .offset:         64
        .size:           8
        .value_kind:     by_value
      - .address_space:  global
        .offset:         72
        .size:           8
        .value_kind:     global_buffer
      - .offset:         80
        .size:           8
        .value_kind:     by_value
      - .offset:         88
        .size:           4
        .value_kind:     by_value
    .group_segment_fixed_size: 256
    .kernarg_segment_align: 8
    .kernarg_segment_size: 92
    .language:       OpenCL C
    .language_version:
      - 2
      - 0
    .max_flat_workgroup_size: 512
    .name:           _ZL20rocblas_trmvt_kernelILi512ELb1ELb0ELb0EPKdPdS2_EviT3_lllT4_lllT5_li
    .private_segment_fixed_size: 0
    .sgpr_count:     34
    .sgpr_spill_count: 0
    .symbol:         _ZL20rocblas_trmvt_kernelILi512ELb1ELb0ELb0EPKdPdS2_EviT3_lllT4_lllT5_li.kd
    .uniform_work_group_size: 1
    .uses_dynamic_stack: false
    .vgpr_count:     28
    .vgpr_spill_count: 0
    .wavefront_size: 32
  - .args:
      - .offset:         0
        .size:           4
        .value_kind:     by_value
      - .address_space:  global
        .offset:         8
        .size:           8
        .value_kind:     global_buffer
      - .offset:         16
        .size:           8
        .value_kind:     by_value
      - .offset:         24
        .size:           8
        .value_kind:     by_value
      - .offset:         32
        .size:           8
        .value_kind:     by_value
      - .address_space:  global
        .offset:         40
        .size:           8
        .value_kind:     global_buffer
      - .offset:         48
        .size:           8
        .value_kind:     by_value
      - .offset:         56
        .size:           8
        .value_kind:     by_value
      - .offset:         64
        .size:           8
        .value_kind:     by_value
      - .address_space:  global
        .offset:         72
        .size:           8
        .value_kind:     global_buffer
      - .offset:         80
        .size:           8
        .value_kind:     by_value
      - .offset:         88
        .size:           4
        .value_kind:     by_value
    .group_segment_fixed_size: 256
    .kernarg_segment_align: 8
    .kernarg_segment_size: 92
    .language:       OpenCL C
    .language_version:
      - 2
      - 0
    .max_flat_workgroup_size: 512
    .name:           _ZL20rocblas_trmvt_kernelILi512ELb1ELb1ELb0EPKdPdS2_EviT3_lllT4_lllT5_li
    .private_segment_fixed_size: 0
    .sgpr_count:     34
    .sgpr_spill_count: 0
    .symbol:         _ZL20rocblas_trmvt_kernelILi512ELb1ELb1ELb0EPKdPdS2_EviT3_lllT4_lllT5_li.kd
    .uniform_work_group_size: 1
    .uses_dynamic_stack: false
    .vgpr_count:     28
    .vgpr_spill_count: 0
    .wavefront_size: 32
  - .args:
      - .offset:         0
        .size:           4
        .value_kind:     by_value
      - .address_space:  global
        .offset:         8
        .size:           8
        .value_kind:     global_buffer
      - .offset:         16
        .size:           8
        .value_kind:     by_value
      - .offset:         24
        .size:           8
        .value_kind:     by_value
      - .offset:         32
        .size:           8
        .value_kind:     by_value
      - .address_space:  global
        .offset:         40
        .size:           8
        .value_kind:     global_buffer
      - .offset:         48
        .size:           8
        .value_kind:     by_value
      - .offset:         56
        .size:           8
        .value_kind:     by_value
      - .offset:         64
        .size:           8
        .value_kind:     by_value
      - .address_space:  global
        .offset:         72
        .size:           8
        .value_kind:     global_buffer
      - .offset:         80
        .size:           8
        .value_kind:     by_value
      - .offset:         88
        .size:           4
        .value_kind:     by_value
      - .offset:         96
        .size:           4
        .value_kind:     hidden_block_count_x
      - .offset:         100
        .size:           4
        .value_kind:     hidden_block_count_y
      - .offset:         104
        .size:           4
        .value_kind:     hidden_block_count_z
      - .offset:         108
        .size:           2
        .value_kind:     hidden_group_size_x
      - .offset:         110
        .size:           2
        .value_kind:     hidden_group_size_y
      - .offset:         112
        .size:           2
        .value_kind:     hidden_group_size_z
      - .offset:         114
        .size:           2
        .value_kind:     hidden_remainder_x
      - .offset:         116
        .size:           2
        .value_kind:     hidden_remainder_y
      - .offset:         118
        .size:           2
        .value_kind:     hidden_remainder_z
      - .offset:         136
        .size:           8
        .value_kind:     hidden_global_offset_x
      - .offset:         144
        .size:           8
        .value_kind:     hidden_global_offset_y
      - .offset:         152
        .size:           8
        .value_kind:     hidden_global_offset_z
      - .offset:         160
        .size:           2
        .value_kind:     hidden_grid_dims
    .group_segment_fixed_size: 8192
    .kernarg_segment_align: 8
    .kernarg_segment_size: 352
    .language:       OpenCL C
    .language_version:
      - 2
      - 0
    .max_flat_workgroup_size: 1024
    .name:           _ZL20rocblas_trmvn_kernelILi64ELi16ELb0ELb1EPK19rocblas_complex_numIfEPS1_S4_EviT3_lllT4_lllT5_li
    .private_segment_fixed_size: 0
    .sgpr_count:     32
    .sgpr_spill_count: 0
    .symbol:         _ZL20rocblas_trmvn_kernelILi64ELi16ELb0ELb1EPK19rocblas_complex_numIfEPS1_S4_EviT3_lllT4_lllT5_li.kd
    .uniform_work_group_size: 1
    .uses_dynamic_stack: false
    .vgpr_count:     28
    .vgpr_spill_count: 0
    .wavefront_size: 32
  - .args:
      - .offset:         0
        .size:           4
        .value_kind:     by_value
      - .address_space:  global
        .offset:         8
        .size:           8
        .value_kind:     global_buffer
      - .offset:         16
        .size:           8
        .value_kind:     by_value
      - .offset:         24
        .size:           8
        .value_kind:     by_value
      - .offset:         32
        .size:           8
        .value_kind:     by_value
      - .address_space:  global
        .offset:         40
        .size:           8
        .value_kind:     global_buffer
      - .offset:         48
        .size:           8
        .value_kind:     by_value
      - .offset:         56
        .size:           8
        .value_kind:     by_value
      - .offset:         64
        .size:           8
        .value_kind:     by_value
      - .address_space:  global
        .offset:         72
        .size:           8
        .value_kind:     global_buffer
      - .offset:         80
        .size:           8
        .value_kind:     by_value
      - .offset:         88
        .size:           4
        .value_kind:     by_value
    .group_segment_fixed_size: 256
    .kernarg_segment_align: 8
    .kernarg_segment_size: 92
    .language:       OpenCL C
    .language_version:
      - 2
      - 0
    .max_flat_workgroup_size: 512
    .name:           _ZL20rocblas_trmvt_kernelILi512ELb0ELb0ELb1EPK19rocblas_complex_numIfEPS1_S4_EviT3_lllT4_lllT5_li
    .private_segment_fixed_size: 0
    .sgpr_count:     32
    .sgpr_spill_count: 0
    .symbol:         _ZL20rocblas_trmvt_kernelILi512ELb0ELb0ELb1EPK19rocblas_complex_numIfEPS1_S4_EviT3_lllT4_lllT5_li.kd
    .uniform_work_group_size: 1
    .uses_dynamic_stack: false
    .vgpr_count:     30
    .vgpr_spill_count: 0
    .wavefront_size: 32
  - .args:
      - .offset:         0
        .size:           4
        .value_kind:     by_value
      - .address_space:  global
        .offset:         8
        .size:           8
        .value_kind:     global_buffer
      - .offset:         16
        .size:           8
        .value_kind:     by_value
      - .offset:         24
        .size:           8
        .value_kind:     by_value
      - .offset:         32
        .size:           8
        .value_kind:     by_value
      - .address_space:  global
        .offset:         40
        .size:           8
        .value_kind:     global_buffer
      - .offset:         48
        .size:           8
        .value_kind:     by_value
      - .offset:         56
        .size:           8
        .value_kind:     by_value
      - .offset:         64
        .size:           8
        .value_kind:     by_value
      - .address_space:  global
        .offset:         72
        .size:           8
        .value_kind:     global_buffer
      - .offset:         80
        .size:           8
        .value_kind:     by_value
      - .offset:         88
        .size:           4
        .value_kind:     by_value
    .group_segment_fixed_size: 256
    .kernarg_segment_align: 8
    .kernarg_segment_size: 92
    .language:       OpenCL C
    .language_version:
      - 2
      - 0
    .max_flat_workgroup_size: 512
    .name:           _ZL20rocblas_trmvt_kernelILi512ELb0ELb1ELb1EPK19rocblas_complex_numIfEPS1_S4_EviT3_lllT4_lllT5_li
    .private_segment_fixed_size: 0
    .sgpr_count:     32
    .sgpr_spill_count: 0
    .symbol:         _ZL20rocblas_trmvt_kernelILi512ELb0ELb1ELb1EPK19rocblas_complex_numIfEPS1_S4_EviT3_lllT4_lllT5_li.kd
    .uniform_work_group_size: 1
    .uses_dynamic_stack: false
    .vgpr_count:     30
    .vgpr_spill_count: 0
    .wavefront_size: 32
  - .args:
      - .offset:         0
        .size:           4
        .value_kind:     by_value
      - .address_space:  global
        .offset:         8
        .size:           8
        .value_kind:     global_buffer
      - .offset:         16
        .size:           8
        .value_kind:     by_value
      - .offset:         24
        .size:           8
        .value_kind:     by_value
      - .offset:         32
        .size:           8
        .value_kind:     by_value
      - .address_space:  global
        .offset:         40
        .size:           8
        .value_kind:     global_buffer
      - .offset:         48
        .size:           8
        .value_kind:     by_value
      - .offset:         56
        .size:           8
        .value_kind:     by_value
      - .offset:         64
        .size:           8
        .value_kind:     by_value
      - .address_space:  global
        .offset:         72
        .size:           8
        .value_kind:     global_buffer
      - .offset:         80
        .size:           8
        .value_kind:     by_value
      - .offset:         88
        .size:           4
        .value_kind:     by_value
      - .offset:         96
        .size:           4
        .value_kind:     hidden_block_count_x
      - .offset:         100
        .size:           4
        .value_kind:     hidden_block_count_y
      - .offset:         104
        .size:           4
        .value_kind:     hidden_block_count_z
      - .offset:         108
        .size:           2
        .value_kind:     hidden_group_size_x
      - .offset:         110
        .size:           2
        .value_kind:     hidden_group_size_y
      - .offset:         112
        .size:           2
        .value_kind:     hidden_group_size_z
      - .offset:         114
        .size:           2
        .value_kind:     hidden_remainder_x
      - .offset:         116
        .size:           2
        .value_kind:     hidden_remainder_y
      - .offset:         118
        .size:           2
        .value_kind:     hidden_remainder_z
      - .offset:         136
        .size:           8
        .value_kind:     hidden_global_offset_x
      - .offset:         144
        .size:           8
        .value_kind:     hidden_global_offset_y
      - .offset:         152
        .size:           8
        .value_kind:     hidden_global_offset_z
      - .offset:         160
        .size:           2
        .value_kind:     hidden_grid_dims
    .group_segment_fixed_size: 8192
    .kernarg_segment_align: 8
    .kernarg_segment_size: 352
    .language:       OpenCL C
    .language_version:
      - 2
      - 0
    .max_flat_workgroup_size: 1024
    .name:           _ZL20rocblas_trmvn_kernelILi64ELi16ELb0ELb0EPK19rocblas_complex_numIfEPS1_S4_EviT3_lllT4_lllT5_li
    .private_segment_fixed_size: 0
    .sgpr_count:     32
    .sgpr_spill_count: 0
    .symbol:         _ZL20rocblas_trmvn_kernelILi64ELi16ELb0ELb0EPK19rocblas_complex_numIfEPS1_S4_EviT3_lllT4_lllT5_li.kd
    .uniform_work_group_size: 1
    .uses_dynamic_stack: false
    .vgpr_count:     30
    .vgpr_spill_count: 0
    .wavefront_size: 32
  - .args:
      - .offset:         0
        .size:           4
        .value_kind:     by_value
      - .address_space:  global
        .offset:         8
        .size:           8
        .value_kind:     global_buffer
      - .offset:         16
        .size:           8
        .value_kind:     by_value
      - .offset:         24
        .size:           8
        .value_kind:     by_value
      - .offset:         32
        .size:           8
        .value_kind:     by_value
      - .address_space:  global
        .offset:         40
        .size:           8
        .value_kind:     global_buffer
      - .offset:         48
        .size:           8
        .value_kind:     by_value
      - .offset:         56
        .size:           8
        .value_kind:     by_value
      - .offset:         64
        .size:           8
        .value_kind:     by_value
      - .address_space:  global
        .offset:         72
        .size:           8
        .value_kind:     global_buffer
      - .offset:         80
        .size:           8
        .value_kind:     by_value
      - .offset:         88
        .size:           4
        .value_kind:     by_value
    .group_segment_fixed_size: 256
    .kernarg_segment_align: 8
    .kernarg_segment_size: 92
    .language:       OpenCL C
    .language_version:
      - 2
      - 0
    .max_flat_workgroup_size: 512
    .name:           _ZL20rocblas_trmvt_kernelILi512ELb0ELb0ELb0EPK19rocblas_complex_numIfEPS1_S4_EviT3_lllT4_lllT5_li
    .private_segment_fixed_size: 0
    .sgpr_count:     34
    .sgpr_spill_count: 0
    .symbol:         _ZL20rocblas_trmvt_kernelILi512ELb0ELb0ELb0EPK19rocblas_complex_numIfEPS1_S4_EviT3_lllT4_lllT5_li.kd
    .uniform_work_group_size: 1
    .uses_dynamic_stack: false
    .vgpr_count:     32
    .vgpr_spill_count: 0
    .wavefront_size: 32
  - .args:
      - .offset:         0
        .size:           4
        .value_kind:     by_value
      - .address_space:  global
        .offset:         8
        .size:           8
        .value_kind:     global_buffer
      - .offset:         16
        .size:           8
        .value_kind:     by_value
      - .offset:         24
        .size:           8
        .value_kind:     by_value
      - .offset:         32
        .size:           8
        .value_kind:     by_value
      - .address_space:  global
        .offset:         40
        .size:           8
        .value_kind:     global_buffer
      - .offset:         48
        .size:           8
        .value_kind:     by_value
      - .offset:         56
        .size:           8
        .value_kind:     by_value
      - .offset:         64
        .size:           8
        .value_kind:     by_value
      - .address_space:  global
        .offset:         72
        .size:           8
        .value_kind:     global_buffer
      - .offset:         80
        .size:           8
        .value_kind:     by_value
      - .offset:         88
        .size:           4
        .value_kind:     by_value
    .group_segment_fixed_size: 256
    .kernarg_segment_align: 8
    .kernarg_segment_size: 92
    .language:       OpenCL C
    .language_version:
      - 2
      - 0
    .max_flat_workgroup_size: 512
    .name:           _ZL20rocblas_trmvt_kernelILi512ELb0ELb1ELb0EPK19rocblas_complex_numIfEPS1_S4_EviT3_lllT4_lllT5_li
    .private_segment_fixed_size: 0
    .sgpr_count:     34
    .sgpr_spill_count: 0
    .symbol:         _ZL20rocblas_trmvt_kernelILi512ELb0ELb1ELb0EPK19rocblas_complex_numIfEPS1_S4_EviT3_lllT4_lllT5_li.kd
    .uniform_work_group_size: 1
    .uses_dynamic_stack: false
    .vgpr_count:     32
    .vgpr_spill_count: 0
    .wavefront_size: 32
  - .args:
      - .offset:         0
        .size:           4
        .value_kind:     by_value
      - .address_space:  global
        .offset:         8
        .size:           8
        .value_kind:     global_buffer
      - .offset:         16
        .size:           8
        .value_kind:     by_value
      - .offset:         24
        .size:           8
        .value_kind:     by_value
      - .offset:         32
        .size:           8
        .value_kind:     by_value
      - .address_space:  global
        .offset:         40
        .size:           8
        .value_kind:     global_buffer
      - .offset:         48
        .size:           8
        .value_kind:     by_value
      - .offset:         56
        .size:           8
        .value_kind:     by_value
      - .offset:         64
        .size:           8
        .value_kind:     by_value
      - .address_space:  global
        .offset:         72
        .size:           8
        .value_kind:     global_buffer
      - .offset:         80
        .size:           8
        .value_kind:     by_value
      - .offset:         88
        .size:           4
        .value_kind:     by_value
      - .offset:         96
        .size:           4
        .value_kind:     hidden_block_count_x
      - .offset:         100
        .size:           4
        .value_kind:     hidden_block_count_y
      - .offset:         104
        .size:           4
        .value_kind:     hidden_block_count_z
      - .offset:         108
        .size:           2
        .value_kind:     hidden_group_size_x
      - .offset:         110
        .size:           2
        .value_kind:     hidden_group_size_y
      - .offset:         112
        .size:           2
        .value_kind:     hidden_group_size_z
      - .offset:         114
        .size:           2
        .value_kind:     hidden_remainder_x
      - .offset:         116
        .size:           2
        .value_kind:     hidden_remainder_y
      - .offset:         118
        .size:           2
        .value_kind:     hidden_remainder_z
      - .offset:         136
        .size:           8
        .value_kind:     hidden_global_offset_x
      - .offset:         144
        .size:           8
        .value_kind:     hidden_global_offset_y
      - .offset:         152
        .size:           8
        .value_kind:     hidden_global_offset_z
      - .offset:         160
        .size:           2
        .value_kind:     hidden_grid_dims
    .group_segment_fixed_size: 8192
    .kernarg_segment_align: 8
    .kernarg_segment_size: 352
    .language:       OpenCL C
    .language_version:
      - 2
      - 0
    .max_flat_workgroup_size: 1024
    .name:           _ZL20rocblas_trmvn_kernelILi64ELi16ELb1ELb1EPK19rocblas_complex_numIfEPS1_S4_EviT3_lllT4_lllT5_li
    .private_segment_fixed_size: 0
    .sgpr_count:     32
    .sgpr_spill_count: 0
    .symbol:         _ZL20rocblas_trmvn_kernelILi64ELi16ELb1ELb1EPK19rocblas_complex_numIfEPS1_S4_EviT3_lllT4_lllT5_li.kd
    .uniform_work_group_size: 1
    .uses_dynamic_stack: false
    .vgpr_count:     28
    .vgpr_spill_count: 0
    .wavefront_size: 32
  - .args:
      - .offset:         0
        .size:           4
        .value_kind:     by_value
      - .address_space:  global
        .offset:         8
        .size:           8
        .value_kind:     global_buffer
      - .offset:         16
        .size:           8
        .value_kind:     by_value
      - .offset:         24
        .size:           8
        .value_kind:     by_value
      - .offset:         32
        .size:           8
        .value_kind:     by_value
      - .address_space:  global
        .offset:         40
        .size:           8
        .value_kind:     global_buffer
      - .offset:         48
        .size:           8
        .value_kind:     by_value
      - .offset:         56
        .size:           8
        .value_kind:     by_value
      - .offset:         64
        .size:           8
        .value_kind:     by_value
      - .address_space:  global
        .offset:         72
        .size:           8
        .value_kind:     global_buffer
      - .offset:         80
        .size:           8
        .value_kind:     by_value
      - .offset:         88
        .size:           4
        .value_kind:     by_value
    .group_segment_fixed_size: 256
    .kernarg_segment_align: 8
    .kernarg_segment_size: 92
    .language:       OpenCL C
    .language_version:
      - 2
      - 0
    .max_flat_workgroup_size: 512
    .name:           _ZL20rocblas_trmvt_kernelILi512ELb1ELb0ELb1EPK19rocblas_complex_numIfEPS1_S4_EviT3_lllT4_lllT5_li
    .private_segment_fixed_size: 0
    .sgpr_count:     32
    .sgpr_spill_count: 0
    .symbol:         _ZL20rocblas_trmvt_kernelILi512ELb1ELb0ELb1EPK19rocblas_complex_numIfEPS1_S4_EviT3_lllT4_lllT5_li.kd
    .uniform_work_group_size: 1
    .uses_dynamic_stack: false
    .vgpr_count:     30
    .vgpr_spill_count: 0
    .wavefront_size: 32
  - .args:
      - .offset:         0
        .size:           4
        .value_kind:     by_value
      - .address_space:  global
        .offset:         8
        .size:           8
        .value_kind:     global_buffer
      - .offset:         16
        .size:           8
        .value_kind:     by_value
      - .offset:         24
        .size:           8
        .value_kind:     by_value
      - .offset:         32
        .size:           8
        .value_kind:     by_value
      - .address_space:  global
        .offset:         40
        .size:           8
        .value_kind:     global_buffer
      - .offset:         48
        .size:           8
        .value_kind:     by_value
      - .offset:         56
        .size:           8
        .value_kind:     by_value
      - .offset:         64
        .size:           8
        .value_kind:     by_value
      - .address_space:  global
        .offset:         72
        .size:           8
        .value_kind:     global_buffer
      - .offset:         80
        .size:           8
        .value_kind:     by_value
      - .offset:         88
        .size:           4
        .value_kind:     by_value
    .group_segment_fixed_size: 256
    .kernarg_segment_align: 8
    .kernarg_segment_size: 92
    .language:       OpenCL C
    .language_version:
      - 2
      - 0
    .max_flat_workgroup_size: 512
    .name:           _ZL20rocblas_trmvt_kernelILi512ELb1ELb1ELb1EPK19rocblas_complex_numIfEPS1_S4_EviT3_lllT4_lllT5_li
    .private_segment_fixed_size: 0
    .sgpr_count:     32
    .sgpr_spill_count: 0
    .symbol:         _ZL20rocblas_trmvt_kernelILi512ELb1ELb1ELb1EPK19rocblas_complex_numIfEPS1_S4_EviT3_lllT4_lllT5_li.kd
    .uniform_work_group_size: 1
    .uses_dynamic_stack: false
    .vgpr_count:     30
    .vgpr_spill_count: 0
    .wavefront_size: 32
  - .args:
      - .offset:         0
        .size:           4
        .value_kind:     by_value
      - .address_space:  global
        .offset:         8
        .size:           8
        .value_kind:     global_buffer
      - .offset:         16
        .size:           8
        .value_kind:     by_value
      - .offset:         24
        .size:           8
        .value_kind:     by_value
      - .offset:         32
        .size:           8
        .value_kind:     by_value
      - .address_space:  global
        .offset:         40
        .size:           8
        .value_kind:     global_buffer
      - .offset:         48
        .size:           8
        .value_kind:     by_value
      - .offset:         56
        .size:           8
        .value_kind:     by_value
      - .offset:         64
        .size:           8
        .value_kind:     by_value
      - .address_space:  global
        .offset:         72
        .size:           8
        .value_kind:     global_buffer
      - .offset:         80
        .size:           8
        .value_kind:     by_value
      - .offset:         88
        .size:           4
        .value_kind:     by_value
      - .offset:         96
        .size:           4
        .value_kind:     hidden_block_count_x
      - .offset:         100
        .size:           4
        .value_kind:     hidden_block_count_y
      - .offset:         104
        .size:           4
        .value_kind:     hidden_block_count_z
      - .offset:         108
        .size:           2
        .value_kind:     hidden_group_size_x
      - .offset:         110
        .size:           2
        .value_kind:     hidden_group_size_y
      - .offset:         112
        .size:           2
        .value_kind:     hidden_group_size_z
      - .offset:         114
        .size:           2
        .value_kind:     hidden_remainder_x
      - .offset:         116
        .size:           2
        .value_kind:     hidden_remainder_y
      - .offset:         118
        .size:           2
        .value_kind:     hidden_remainder_z
      - .offset:         136
        .size:           8
        .value_kind:     hidden_global_offset_x
      - .offset:         144
        .size:           8
        .value_kind:     hidden_global_offset_y
      - .offset:         152
        .size:           8
        .value_kind:     hidden_global_offset_z
      - .offset:         160
        .size:           2
        .value_kind:     hidden_grid_dims
    .group_segment_fixed_size: 8192
    .kernarg_segment_align: 8
    .kernarg_segment_size: 352
    .language:       OpenCL C
    .language_version:
      - 2
      - 0
    .max_flat_workgroup_size: 1024
    .name:           _ZL20rocblas_trmvn_kernelILi64ELi16ELb1ELb0EPK19rocblas_complex_numIfEPS1_S4_EviT3_lllT4_lllT5_li
    .private_segment_fixed_size: 0
    .sgpr_count:     32
    .sgpr_spill_count: 0
    .symbol:         _ZL20rocblas_trmvn_kernelILi64ELi16ELb1ELb0EPK19rocblas_complex_numIfEPS1_S4_EviT3_lllT4_lllT5_li.kd
    .uniform_work_group_size: 1
    .uses_dynamic_stack: false
    .vgpr_count:     30
    .vgpr_spill_count: 0
    .wavefront_size: 32
  - .args:
      - .offset:         0
        .size:           4
        .value_kind:     by_value
      - .address_space:  global
        .offset:         8
        .size:           8
        .value_kind:     global_buffer
      - .offset:         16
        .size:           8
        .value_kind:     by_value
      - .offset:         24
        .size:           8
        .value_kind:     by_value
      - .offset:         32
        .size:           8
        .value_kind:     by_value
      - .address_space:  global
        .offset:         40
        .size:           8
        .value_kind:     global_buffer
      - .offset:         48
        .size:           8
        .value_kind:     by_value
      - .offset:         56
        .size:           8
        .value_kind:     by_value
      - .offset:         64
        .size:           8
        .value_kind:     by_value
      - .address_space:  global
        .offset:         72
        .size:           8
        .value_kind:     global_buffer
      - .offset:         80
        .size:           8
        .value_kind:     by_value
      - .offset:         88
        .size:           4
        .value_kind:     by_value
    .group_segment_fixed_size: 256
    .kernarg_segment_align: 8
    .kernarg_segment_size: 92
    .language:       OpenCL C
    .language_version:
      - 2
      - 0
    .max_flat_workgroup_size: 512
    .name:           _ZL20rocblas_trmvt_kernelILi512ELb1ELb0ELb0EPK19rocblas_complex_numIfEPS1_S4_EviT3_lllT4_lllT5_li
    .private_segment_fixed_size: 0
    .sgpr_count:     34
    .sgpr_spill_count: 0
    .symbol:         _ZL20rocblas_trmvt_kernelILi512ELb1ELb0ELb0EPK19rocblas_complex_numIfEPS1_S4_EviT3_lllT4_lllT5_li.kd
    .uniform_work_group_size: 1
    .uses_dynamic_stack: false
    .vgpr_count:     32
    .vgpr_spill_count: 0
    .wavefront_size: 32
  - .args:
      - .offset:         0
        .size:           4
        .value_kind:     by_value
      - .address_space:  global
        .offset:         8
        .size:           8
        .value_kind:     global_buffer
      - .offset:         16
        .size:           8
        .value_kind:     by_value
      - .offset:         24
        .size:           8
        .value_kind:     by_value
      - .offset:         32
        .size:           8
        .value_kind:     by_value
      - .address_space:  global
        .offset:         40
        .size:           8
        .value_kind:     global_buffer
      - .offset:         48
        .size:           8
        .value_kind:     by_value
      - .offset:         56
        .size:           8
        .value_kind:     by_value
      - .offset:         64
        .size:           8
        .value_kind:     by_value
      - .address_space:  global
        .offset:         72
        .size:           8
        .value_kind:     global_buffer
      - .offset:         80
        .size:           8
        .value_kind:     by_value
      - .offset:         88
        .size:           4
        .value_kind:     by_value
    .group_segment_fixed_size: 256
    .kernarg_segment_align: 8
    .kernarg_segment_size: 92
    .language:       OpenCL C
    .language_version:
      - 2
      - 0
    .max_flat_workgroup_size: 512
    .name:           _ZL20rocblas_trmvt_kernelILi512ELb1ELb1ELb0EPK19rocblas_complex_numIfEPS1_S4_EviT3_lllT4_lllT5_li
    .private_segment_fixed_size: 0
    .sgpr_count:     34
    .sgpr_spill_count: 0
    .symbol:         _ZL20rocblas_trmvt_kernelILi512ELb1ELb1ELb0EPK19rocblas_complex_numIfEPS1_S4_EviT3_lllT4_lllT5_li.kd
    .uniform_work_group_size: 1
    .uses_dynamic_stack: false
    .vgpr_count:     32
    .vgpr_spill_count: 0
    .wavefront_size: 32
  - .args:
      - .offset:         0
        .size:           4
        .value_kind:     by_value
      - .address_space:  global
        .offset:         8
        .size:           8
        .value_kind:     global_buffer
      - .offset:         16
        .size:           8
        .value_kind:     by_value
      - .offset:         24
        .size:           8
        .value_kind:     by_value
      - .offset:         32
        .size:           8
        .value_kind:     by_value
      - .address_space:  global
        .offset:         40
        .size:           8
        .value_kind:     global_buffer
      - .offset:         48
        .size:           8
        .value_kind:     by_value
      - .offset:         56
        .size:           8
        .value_kind:     by_value
      - .offset:         64
        .size:           8
        .value_kind:     by_value
      - .address_space:  global
        .offset:         72
        .size:           8
        .value_kind:     global_buffer
      - .offset:         80
        .size:           8
        .value_kind:     by_value
      - .offset:         88
        .size:           4
        .value_kind:     by_value
      - .offset:         96
        .size:           4
        .value_kind:     hidden_block_count_x
      - .offset:         100
        .size:           4
        .value_kind:     hidden_block_count_y
      - .offset:         104
        .size:           4
        .value_kind:     hidden_block_count_z
      - .offset:         108
        .size:           2
        .value_kind:     hidden_group_size_x
      - .offset:         110
        .size:           2
        .value_kind:     hidden_group_size_y
      - .offset:         112
        .size:           2
        .value_kind:     hidden_group_size_z
      - .offset:         114
        .size:           2
        .value_kind:     hidden_remainder_x
      - .offset:         116
        .size:           2
        .value_kind:     hidden_remainder_y
      - .offset:         118
        .size:           2
        .value_kind:     hidden_remainder_z
      - .offset:         136
        .size:           8
        .value_kind:     hidden_global_offset_x
      - .offset:         144
        .size:           8
        .value_kind:     hidden_global_offset_y
      - .offset:         152
        .size:           8
        .value_kind:     hidden_global_offset_z
      - .offset:         160
        .size:           2
        .value_kind:     hidden_grid_dims
    .group_segment_fixed_size: 16384
    .kernarg_segment_align: 8
    .kernarg_segment_size: 352
    .language:       OpenCL C
    .language_version:
      - 2
      - 0
    .max_flat_workgroup_size: 1024
    .name:           _ZL20rocblas_trmvn_kernelILi64ELi16ELb0ELb1EPK19rocblas_complex_numIdEPS1_S4_EviT3_lllT4_lllT5_li
    .private_segment_fixed_size: 0
    .sgpr_count:     30
    .sgpr_spill_count: 0
    .symbol:         _ZL20rocblas_trmvn_kernelILi64ELi16ELb0ELb1EPK19rocblas_complex_numIdEPS1_S4_EviT3_lllT4_lllT5_li.kd
    .uniform_work_group_size: 1
    .uses_dynamic_stack: false
    .vgpr_count:     32
    .vgpr_spill_count: 0
    .wavefront_size: 32
  - .args:
      - .offset:         0
        .size:           4
        .value_kind:     by_value
      - .address_space:  global
        .offset:         8
        .size:           8
        .value_kind:     global_buffer
      - .offset:         16
        .size:           8
        .value_kind:     by_value
      - .offset:         24
        .size:           8
        .value_kind:     by_value
      - .offset:         32
        .size:           8
        .value_kind:     by_value
      - .address_space:  global
        .offset:         40
        .size:           8
        .value_kind:     global_buffer
      - .offset:         48
        .size:           8
        .value_kind:     by_value
      - .offset:         56
        .size:           8
        .value_kind:     by_value
      - .offset:         64
        .size:           8
        .value_kind:     by_value
      - .address_space:  global
        .offset:         72
        .size:           8
        .value_kind:     global_buffer
      - .offset:         80
        .size:           8
        .value_kind:     by_value
      - .offset:         88
        .size:           4
        .value_kind:     by_value
    .group_segment_fixed_size: 512
    .kernarg_segment_align: 8
    .kernarg_segment_size: 92
    .language:       OpenCL C
    .language_version:
      - 2
      - 0
    .max_flat_workgroup_size: 512
    .name:           _ZL20rocblas_trmvt_kernelILi512ELb0ELb0ELb1EPK19rocblas_complex_numIdEPS1_S4_EviT3_lllT4_lllT5_li
    .private_segment_fixed_size: 0
    .sgpr_count:     33
    .sgpr_spill_count: 0
    .symbol:         _ZL20rocblas_trmvt_kernelILi512ELb0ELb0ELb1EPK19rocblas_complex_numIdEPS1_S4_EviT3_lllT4_lllT5_li.kd
    .uniform_work_group_size: 1
    .uses_dynamic_stack: false
    .vgpr_count:     32
    .vgpr_spill_count: 0
    .wavefront_size: 32
  - .args:
      - .offset:         0
        .size:           4
        .value_kind:     by_value
      - .address_space:  global
        .offset:         8
        .size:           8
        .value_kind:     global_buffer
      - .offset:         16
        .size:           8
        .value_kind:     by_value
      - .offset:         24
        .size:           8
        .value_kind:     by_value
      - .offset:         32
        .size:           8
        .value_kind:     by_value
      - .address_space:  global
        .offset:         40
        .size:           8
        .value_kind:     global_buffer
      - .offset:         48
        .size:           8
        .value_kind:     by_value
      - .offset:         56
        .size:           8
        .value_kind:     by_value
      - .offset:         64
        .size:           8
        .value_kind:     by_value
      - .address_space:  global
        .offset:         72
        .size:           8
        .value_kind:     global_buffer
      - .offset:         80
        .size:           8
        .value_kind:     by_value
      - .offset:         88
        .size:           4
        .value_kind:     by_value
    .group_segment_fixed_size: 512
    .kernarg_segment_align: 8
    .kernarg_segment_size: 92
    .language:       OpenCL C
    .language_version:
      - 2
      - 0
    .max_flat_workgroup_size: 512
    .name:           _ZL20rocblas_trmvt_kernelILi512ELb0ELb1ELb1EPK19rocblas_complex_numIdEPS1_S4_EviT3_lllT4_lllT5_li
    .private_segment_fixed_size: 0
    .sgpr_count:     33
    .sgpr_spill_count: 0
    .symbol:         _ZL20rocblas_trmvt_kernelILi512ELb0ELb1ELb1EPK19rocblas_complex_numIdEPS1_S4_EviT3_lllT4_lllT5_li.kd
    .uniform_work_group_size: 1
    .uses_dynamic_stack: false
    .vgpr_count:     32
    .vgpr_spill_count: 0
    .wavefront_size: 32
  - .args:
      - .offset:         0
        .size:           4
        .value_kind:     by_value
      - .address_space:  global
        .offset:         8
        .size:           8
        .value_kind:     global_buffer
      - .offset:         16
        .size:           8
        .value_kind:     by_value
      - .offset:         24
        .size:           8
        .value_kind:     by_value
      - .offset:         32
        .size:           8
        .value_kind:     by_value
      - .address_space:  global
        .offset:         40
        .size:           8
        .value_kind:     global_buffer
      - .offset:         48
        .size:           8
        .value_kind:     by_value
      - .offset:         56
        .size:           8
        .value_kind:     by_value
      - .offset:         64
        .size:           8
        .value_kind:     by_value
      - .address_space:  global
        .offset:         72
        .size:           8
        .value_kind:     global_buffer
      - .offset:         80
        .size:           8
        .value_kind:     by_value
      - .offset:         88
        .size:           4
        .value_kind:     by_value
      - .offset:         96
        .size:           4
        .value_kind:     hidden_block_count_x
      - .offset:         100
        .size:           4
        .value_kind:     hidden_block_count_y
      - .offset:         104
        .size:           4
        .value_kind:     hidden_block_count_z
      - .offset:         108
        .size:           2
        .value_kind:     hidden_group_size_x
      - .offset:         110
        .size:           2
        .value_kind:     hidden_group_size_y
      - .offset:         112
        .size:           2
        .value_kind:     hidden_group_size_z
      - .offset:         114
        .size:           2
        .value_kind:     hidden_remainder_x
      - .offset:         116
        .size:           2
        .value_kind:     hidden_remainder_y
      - .offset:         118
        .size:           2
        .value_kind:     hidden_remainder_z
      - .offset:         136
        .size:           8
        .value_kind:     hidden_global_offset_x
      - .offset:         144
        .size:           8
        .value_kind:     hidden_global_offset_y
      - .offset:         152
        .size:           8
        .value_kind:     hidden_global_offset_z
      - .offset:         160
        .size:           2
        .value_kind:     hidden_grid_dims
    .group_segment_fixed_size: 16384
    .kernarg_segment_align: 8
    .kernarg_segment_size: 352
    .language:       OpenCL C
    .language_version:
      - 2
      - 0
    .max_flat_workgroup_size: 1024
    .name:           _ZL20rocblas_trmvn_kernelILi64ELi16ELb0ELb0EPK19rocblas_complex_numIdEPS1_S4_EviT3_lllT4_lllT5_li
    .private_segment_fixed_size: 0
    .sgpr_count:     32
    .sgpr_spill_count: 0
    .symbol:         _ZL20rocblas_trmvn_kernelILi64ELi16ELb0ELb0EPK19rocblas_complex_numIdEPS1_S4_EviT3_lllT4_lllT5_li.kd
    .uniform_work_group_size: 1
    .uses_dynamic_stack: false
    .vgpr_count:     34
    .vgpr_spill_count: 0
    .wavefront_size: 32
  - .args:
      - .offset:         0
        .size:           4
        .value_kind:     by_value
      - .address_space:  global
        .offset:         8
        .size:           8
        .value_kind:     global_buffer
      - .offset:         16
        .size:           8
        .value_kind:     by_value
      - .offset:         24
        .size:           8
        .value_kind:     by_value
      - .offset:         32
        .size:           8
        .value_kind:     by_value
      - .address_space:  global
        .offset:         40
        .size:           8
        .value_kind:     global_buffer
      - .offset:         48
        .size:           8
        .value_kind:     by_value
      - .offset:         56
        .size:           8
        .value_kind:     by_value
      - .offset:         64
        .size:           8
        .value_kind:     by_value
      - .address_space:  global
        .offset:         72
        .size:           8
        .value_kind:     global_buffer
      - .offset:         80
        .size:           8
        .value_kind:     by_value
      - .offset:         88
        .size:           4
        .value_kind:     by_value
    .group_segment_fixed_size: 512
    .kernarg_segment_align: 8
    .kernarg_segment_size: 92
    .language:       OpenCL C
    .language_version:
      - 2
      - 0
    .max_flat_workgroup_size: 512
    .name:           _ZL20rocblas_trmvt_kernelILi512ELb0ELb0ELb0EPK19rocblas_complex_numIdEPS1_S4_EviT3_lllT4_lllT5_li
    .private_segment_fixed_size: 0
    .sgpr_count:     38
    .sgpr_spill_count: 0
    .symbol:         _ZL20rocblas_trmvt_kernelILi512ELb0ELb0ELb0EPK19rocblas_complex_numIdEPS1_S4_EviT3_lllT4_lllT5_li.kd
    .uniform_work_group_size: 1
    .uses_dynamic_stack: false
    .vgpr_count:     34
    .vgpr_spill_count: 0
    .wavefront_size: 32
  - .args:
      - .offset:         0
        .size:           4
        .value_kind:     by_value
      - .address_space:  global
        .offset:         8
        .size:           8
        .value_kind:     global_buffer
      - .offset:         16
        .size:           8
        .value_kind:     by_value
      - .offset:         24
        .size:           8
        .value_kind:     by_value
      - .offset:         32
        .size:           8
        .value_kind:     by_value
      - .address_space:  global
        .offset:         40
        .size:           8
        .value_kind:     global_buffer
      - .offset:         48
        .size:           8
        .value_kind:     by_value
      - .offset:         56
        .size:           8
        .value_kind:     by_value
      - .offset:         64
        .size:           8
        .value_kind:     by_value
      - .address_space:  global
        .offset:         72
        .size:           8
        .value_kind:     global_buffer
      - .offset:         80
        .size:           8
        .value_kind:     by_value
      - .offset:         88
        .size:           4
        .value_kind:     by_value
    .group_segment_fixed_size: 512
    .kernarg_segment_align: 8
    .kernarg_segment_size: 92
    .language:       OpenCL C
    .language_version:
      - 2
      - 0
    .max_flat_workgroup_size: 512
    .name:           _ZL20rocblas_trmvt_kernelILi512ELb0ELb1ELb0EPK19rocblas_complex_numIdEPS1_S4_EviT3_lllT4_lllT5_li
    .private_segment_fixed_size: 0
    .sgpr_count:     38
    .sgpr_spill_count: 0
    .symbol:         _ZL20rocblas_trmvt_kernelILi512ELb0ELb1ELb0EPK19rocblas_complex_numIdEPS1_S4_EviT3_lllT4_lllT5_li.kd
    .uniform_work_group_size: 1
    .uses_dynamic_stack: false
    .vgpr_count:     34
    .vgpr_spill_count: 0
    .wavefront_size: 32
  - .args:
      - .offset:         0
        .size:           4
        .value_kind:     by_value
      - .address_space:  global
        .offset:         8
        .size:           8
        .value_kind:     global_buffer
      - .offset:         16
        .size:           8
        .value_kind:     by_value
      - .offset:         24
        .size:           8
        .value_kind:     by_value
      - .offset:         32
        .size:           8
        .value_kind:     by_value
      - .address_space:  global
        .offset:         40
        .size:           8
        .value_kind:     global_buffer
      - .offset:         48
        .size:           8
        .value_kind:     by_value
      - .offset:         56
        .size:           8
        .value_kind:     by_value
      - .offset:         64
        .size:           8
        .value_kind:     by_value
      - .address_space:  global
        .offset:         72
        .size:           8
        .value_kind:     global_buffer
      - .offset:         80
        .size:           8
        .value_kind:     by_value
      - .offset:         88
        .size:           4
        .value_kind:     by_value
      - .offset:         96
        .size:           4
        .value_kind:     hidden_block_count_x
      - .offset:         100
        .size:           4
        .value_kind:     hidden_block_count_y
      - .offset:         104
        .size:           4
        .value_kind:     hidden_block_count_z
      - .offset:         108
        .size:           2
        .value_kind:     hidden_group_size_x
      - .offset:         110
        .size:           2
        .value_kind:     hidden_group_size_y
      - .offset:         112
        .size:           2
        .value_kind:     hidden_group_size_z
      - .offset:         114
        .size:           2
        .value_kind:     hidden_remainder_x
      - .offset:         116
        .size:           2
        .value_kind:     hidden_remainder_y
      - .offset:         118
        .size:           2
        .value_kind:     hidden_remainder_z
      - .offset:         136
        .size:           8
        .value_kind:     hidden_global_offset_x
      - .offset:         144
        .size:           8
        .value_kind:     hidden_global_offset_y
      - .offset:         152
        .size:           8
        .value_kind:     hidden_global_offset_z
      - .offset:         160
        .size:           2
        .value_kind:     hidden_grid_dims
    .group_segment_fixed_size: 16384
    .kernarg_segment_align: 8
    .kernarg_segment_size: 352
    .language:       OpenCL C
    .language_version:
      - 2
      - 0
    .max_flat_workgroup_size: 1024
    .name:           _ZL20rocblas_trmvn_kernelILi64ELi16ELb1ELb1EPK19rocblas_complex_numIdEPS1_S4_EviT3_lllT4_lllT5_li
    .private_segment_fixed_size: 0
    .sgpr_count:     30
    .sgpr_spill_count: 0
    .symbol:         _ZL20rocblas_trmvn_kernelILi64ELi16ELb1ELb1EPK19rocblas_complex_numIdEPS1_S4_EviT3_lllT4_lllT5_li.kd
    .uniform_work_group_size: 1
    .uses_dynamic_stack: false
    .vgpr_count:     32
    .vgpr_spill_count: 0
    .wavefront_size: 32
  - .args:
      - .offset:         0
        .size:           4
        .value_kind:     by_value
      - .address_space:  global
        .offset:         8
        .size:           8
        .value_kind:     global_buffer
      - .offset:         16
        .size:           8
        .value_kind:     by_value
      - .offset:         24
        .size:           8
        .value_kind:     by_value
      - .offset:         32
        .size:           8
        .value_kind:     by_value
      - .address_space:  global
        .offset:         40
        .size:           8
        .value_kind:     global_buffer
      - .offset:         48
        .size:           8
        .value_kind:     by_value
      - .offset:         56
        .size:           8
        .value_kind:     by_value
      - .offset:         64
        .size:           8
        .value_kind:     by_value
      - .address_space:  global
        .offset:         72
        .size:           8
        .value_kind:     global_buffer
      - .offset:         80
        .size:           8
        .value_kind:     by_value
      - .offset:         88
        .size:           4
        .value_kind:     by_value
    .group_segment_fixed_size: 512
    .kernarg_segment_align: 8
    .kernarg_segment_size: 92
    .language:       OpenCL C
    .language_version:
      - 2
      - 0
    .max_flat_workgroup_size: 512
    .name:           _ZL20rocblas_trmvt_kernelILi512ELb1ELb0ELb1EPK19rocblas_complex_numIdEPS1_S4_EviT3_lllT4_lllT5_li
    .private_segment_fixed_size: 0
    .sgpr_count:     33
    .sgpr_spill_count: 0
    .symbol:         _ZL20rocblas_trmvt_kernelILi512ELb1ELb0ELb1EPK19rocblas_complex_numIdEPS1_S4_EviT3_lllT4_lllT5_li.kd
    .uniform_work_group_size: 1
    .uses_dynamic_stack: false
    .vgpr_count:     32
    .vgpr_spill_count: 0
    .wavefront_size: 32
  - .args:
      - .offset:         0
        .size:           4
        .value_kind:     by_value
      - .address_space:  global
        .offset:         8
        .size:           8
        .value_kind:     global_buffer
      - .offset:         16
        .size:           8
        .value_kind:     by_value
      - .offset:         24
        .size:           8
        .value_kind:     by_value
      - .offset:         32
        .size:           8
        .value_kind:     by_value
      - .address_space:  global
        .offset:         40
        .size:           8
        .value_kind:     global_buffer
      - .offset:         48
        .size:           8
        .value_kind:     by_value
      - .offset:         56
        .size:           8
        .value_kind:     by_value
      - .offset:         64
        .size:           8
        .value_kind:     by_value
      - .address_space:  global
        .offset:         72
        .size:           8
        .value_kind:     global_buffer
      - .offset:         80
        .size:           8
        .value_kind:     by_value
      - .offset:         88
        .size:           4
        .value_kind:     by_value
    .group_segment_fixed_size: 512
    .kernarg_segment_align: 8
    .kernarg_segment_size: 92
    .language:       OpenCL C
    .language_version:
      - 2
      - 0
    .max_flat_workgroup_size: 512
    .name:           _ZL20rocblas_trmvt_kernelILi512ELb1ELb1ELb1EPK19rocblas_complex_numIdEPS1_S4_EviT3_lllT4_lllT5_li
    .private_segment_fixed_size: 0
    .sgpr_count:     33
    .sgpr_spill_count: 0
    .symbol:         _ZL20rocblas_trmvt_kernelILi512ELb1ELb1ELb1EPK19rocblas_complex_numIdEPS1_S4_EviT3_lllT4_lllT5_li.kd
    .uniform_work_group_size: 1
    .uses_dynamic_stack: false
    .vgpr_count:     32
    .vgpr_spill_count: 0
    .wavefront_size: 32
  - .args:
      - .offset:         0
        .size:           4
        .value_kind:     by_value
      - .address_space:  global
        .offset:         8
        .size:           8
        .value_kind:     global_buffer
      - .offset:         16
        .size:           8
        .value_kind:     by_value
      - .offset:         24
        .size:           8
        .value_kind:     by_value
      - .offset:         32
        .size:           8
        .value_kind:     by_value
      - .address_space:  global
        .offset:         40
        .size:           8
        .value_kind:     global_buffer
      - .offset:         48
        .size:           8
        .value_kind:     by_value
      - .offset:         56
        .size:           8
        .value_kind:     by_value
      - .offset:         64
        .size:           8
        .value_kind:     by_value
      - .address_space:  global
        .offset:         72
        .size:           8
        .value_kind:     global_buffer
      - .offset:         80
        .size:           8
        .value_kind:     by_value
      - .offset:         88
        .size:           4
        .value_kind:     by_value
      - .offset:         96
        .size:           4
        .value_kind:     hidden_block_count_x
      - .offset:         100
        .size:           4
        .value_kind:     hidden_block_count_y
      - .offset:         104
        .size:           4
        .value_kind:     hidden_block_count_z
      - .offset:         108
        .size:           2
        .value_kind:     hidden_group_size_x
      - .offset:         110
        .size:           2
        .value_kind:     hidden_group_size_y
      - .offset:         112
        .size:           2
        .value_kind:     hidden_group_size_z
      - .offset:         114
        .size:           2
        .value_kind:     hidden_remainder_x
      - .offset:         116
        .size:           2
        .value_kind:     hidden_remainder_y
      - .offset:         118
        .size:           2
        .value_kind:     hidden_remainder_z
      - .offset:         136
        .size:           8
        .value_kind:     hidden_global_offset_x
      - .offset:         144
        .size:           8
        .value_kind:     hidden_global_offset_y
      - .offset:         152
        .size:           8
        .value_kind:     hidden_global_offset_z
      - .offset:         160
        .size:           2
        .value_kind:     hidden_grid_dims
    .group_segment_fixed_size: 16384
    .kernarg_segment_align: 8
    .kernarg_segment_size: 352
    .language:       OpenCL C
    .language_version:
      - 2
      - 0
    .max_flat_workgroup_size: 1024
    .name:           _ZL20rocblas_trmvn_kernelILi64ELi16ELb1ELb0EPK19rocblas_complex_numIdEPS1_S4_EviT3_lllT4_lllT5_li
    .private_segment_fixed_size: 0
    .sgpr_count:     32
    .sgpr_spill_count: 0
    .symbol:         _ZL20rocblas_trmvn_kernelILi64ELi16ELb1ELb0EPK19rocblas_complex_numIdEPS1_S4_EviT3_lllT4_lllT5_li.kd
    .uniform_work_group_size: 1
    .uses_dynamic_stack: false
    .vgpr_count:     34
    .vgpr_spill_count: 0
    .wavefront_size: 32
  - .args:
      - .offset:         0
        .size:           4
        .value_kind:     by_value
      - .address_space:  global
        .offset:         8
        .size:           8
        .value_kind:     global_buffer
      - .offset:         16
        .size:           8
        .value_kind:     by_value
      - .offset:         24
        .size:           8
        .value_kind:     by_value
      - .offset:         32
        .size:           8
        .value_kind:     by_value
      - .address_space:  global
        .offset:         40
        .size:           8
        .value_kind:     global_buffer
      - .offset:         48
        .size:           8
        .value_kind:     by_value
      - .offset:         56
        .size:           8
        .value_kind:     by_value
      - .offset:         64
        .size:           8
        .value_kind:     by_value
      - .address_space:  global
        .offset:         72
        .size:           8
        .value_kind:     global_buffer
      - .offset:         80
        .size:           8
        .value_kind:     by_value
      - .offset:         88
        .size:           4
        .value_kind:     by_value
    .group_segment_fixed_size: 512
    .kernarg_segment_align: 8
    .kernarg_segment_size: 92
    .language:       OpenCL C
    .language_version:
      - 2
      - 0
    .max_flat_workgroup_size: 512
    .name:           _ZL20rocblas_trmvt_kernelILi512ELb1ELb0ELb0EPK19rocblas_complex_numIdEPS1_S4_EviT3_lllT4_lllT5_li
    .private_segment_fixed_size: 0
    .sgpr_count:     38
    .sgpr_spill_count: 0
    .symbol:         _ZL20rocblas_trmvt_kernelILi512ELb1ELb0ELb0EPK19rocblas_complex_numIdEPS1_S4_EviT3_lllT4_lllT5_li.kd
    .uniform_work_group_size: 1
    .uses_dynamic_stack: false
    .vgpr_count:     34
    .vgpr_spill_count: 0
    .wavefront_size: 32
  - .args:
      - .offset:         0
        .size:           4
        .value_kind:     by_value
      - .address_space:  global
        .offset:         8
        .size:           8
        .value_kind:     global_buffer
      - .offset:         16
        .size:           8
        .value_kind:     by_value
      - .offset:         24
        .size:           8
        .value_kind:     by_value
      - .offset:         32
        .size:           8
        .value_kind:     by_value
      - .address_space:  global
        .offset:         40
        .size:           8
        .value_kind:     global_buffer
      - .offset:         48
        .size:           8
        .value_kind:     by_value
      - .offset:         56
        .size:           8
        .value_kind:     by_value
      - .offset:         64
        .size:           8
        .value_kind:     by_value
      - .address_space:  global
        .offset:         72
        .size:           8
        .value_kind:     global_buffer
      - .offset:         80
        .size:           8
        .value_kind:     by_value
      - .offset:         88
        .size:           4
        .value_kind:     by_value
    .group_segment_fixed_size: 512
    .kernarg_segment_align: 8
    .kernarg_segment_size: 92
    .language:       OpenCL C
    .language_version:
      - 2
      - 0
    .max_flat_workgroup_size: 512
    .name:           _ZL20rocblas_trmvt_kernelILi512ELb1ELb1ELb0EPK19rocblas_complex_numIdEPS1_S4_EviT3_lllT4_lllT5_li
    .private_segment_fixed_size: 0
    .sgpr_count:     38
    .sgpr_spill_count: 0
    .symbol:         _ZL20rocblas_trmvt_kernelILi512ELb1ELb1ELb0EPK19rocblas_complex_numIdEPS1_S4_EviT3_lllT4_lllT5_li.kd
    .uniform_work_group_size: 1
    .uses_dynamic_stack: false
    .vgpr_count:     34
    .vgpr_spill_count: 0
    .wavefront_size: 32
  - .args:
      - .offset:         0
        .size:           4
        .value_kind:     by_value
      - .address_space:  global
        .offset:         8
        .size:           8
        .value_kind:     global_buffer
      - .offset:         16
        .size:           8
        .value_kind:     by_value
      - .offset:         24
        .size:           8
        .value_kind:     by_value
      - .offset:         32
        .size:           8
        .value_kind:     by_value
      - .address_space:  global
        .offset:         40
        .size:           8
        .value_kind:     global_buffer
      - .offset:         48
        .size:           8
        .value_kind:     by_value
      - .offset:         56
        .size:           8
        .value_kind:     by_value
      - .offset:         64
        .size:           8
        .value_kind:     by_value
      - .address_space:  global
        .offset:         72
        .size:           8
        .value_kind:     global_buffer
      - .offset:         80
        .size:           8
        .value_kind:     by_value
      - .offset:         88
        .size:           4
        .value_kind:     by_value
      - .offset:         96
        .size:           4
        .value_kind:     hidden_block_count_x
      - .offset:         100
        .size:           4
        .value_kind:     hidden_block_count_y
      - .offset:         104
        .size:           4
        .value_kind:     hidden_block_count_z
      - .offset:         108
        .size:           2
        .value_kind:     hidden_group_size_x
      - .offset:         110
        .size:           2
        .value_kind:     hidden_group_size_y
      - .offset:         112
        .size:           2
        .value_kind:     hidden_group_size_z
      - .offset:         114
        .size:           2
        .value_kind:     hidden_remainder_x
      - .offset:         116
        .size:           2
        .value_kind:     hidden_remainder_y
      - .offset:         118
        .size:           2
        .value_kind:     hidden_remainder_z
      - .offset:         136
        .size:           8
        .value_kind:     hidden_global_offset_x
      - .offset:         144
        .size:           8
        .value_kind:     hidden_global_offset_y
      - .offset:         152
        .size:           8
        .value_kind:     hidden_global_offset_z
      - .offset:         160
        .size:           2
        .value_kind:     hidden_grid_dims
    .group_segment_fixed_size: 4096
    .kernarg_segment_align: 8
    .kernarg_segment_size: 352
    .language:       OpenCL C
    .language_version:
      - 2
      - 0
    .max_flat_workgroup_size: 1024
    .name:           _ZL20rocblas_trmvn_kernelILi64ELi16ELb0ELb1EPKPKfPKPfS4_EviT3_lllT4_lllT5_li
    .private_segment_fixed_size: 0
    .sgpr_count:     26
    .sgpr_spill_count: 0
    .symbol:         _ZL20rocblas_trmvn_kernelILi64ELi16ELb0ELb1EPKPKfPKPfS4_EviT3_lllT4_lllT5_li.kd
    .uniform_work_group_size: 1
    .uses_dynamic_stack: false
    .vgpr_count:     21
    .vgpr_spill_count: 0
    .wavefront_size: 32
  - .args:
      - .offset:         0
        .size:           4
        .value_kind:     by_value
      - .address_space:  global
        .offset:         8
        .size:           8
        .value_kind:     global_buffer
      - .offset:         16
        .size:           8
        .value_kind:     by_value
      - .offset:         24
        .size:           8
        .value_kind:     by_value
      - .offset:         32
        .size:           8
        .value_kind:     by_value
      - .address_space:  global
        .offset:         40
        .size:           8
        .value_kind:     global_buffer
      - .offset:         48
        .size:           8
        .value_kind:     by_value
      - .offset:         56
        .size:           8
        .value_kind:     by_value
      - .offset:         64
        .size:           8
        .value_kind:     by_value
      - .address_space:  global
        .offset:         72
        .size:           8
        .value_kind:     global_buffer
      - .offset:         80
        .size:           8
        .value_kind:     by_value
      - .offset:         88
        .size:           4
        .value_kind:     by_value
    .group_segment_fixed_size: 128
    .kernarg_segment_align: 8
    .kernarg_segment_size: 92
    .language:       OpenCL C
    .language_version:
      - 2
      - 0
    .max_flat_workgroup_size: 512
    .name:           _ZL20rocblas_trmvt_kernelILi512ELb0ELb0ELb1EPKPKfPKPfS4_EviT3_lllT4_lllT5_li
    .private_segment_fixed_size: 0
    .sgpr_count:     34
    .sgpr_spill_count: 0
    .symbol:         _ZL20rocblas_trmvt_kernelILi512ELb0ELb0ELb1EPKPKfPKPfS4_EviT3_lllT4_lllT5_li.kd
    .uniform_work_group_size: 1
    .uses_dynamic_stack: false
    .vgpr_count:     20
    .vgpr_spill_count: 0
    .wavefront_size: 32
  - .args:
      - .offset:         0
        .size:           4
        .value_kind:     by_value
      - .address_space:  global
        .offset:         8
        .size:           8
        .value_kind:     global_buffer
      - .offset:         16
        .size:           8
        .value_kind:     by_value
      - .offset:         24
        .size:           8
        .value_kind:     by_value
      - .offset:         32
        .size:           8
        .value_kind:     by_value
      - .address_space:  global
        .offset:         40
        .size:           8
        .value_kind:     global_buffer
      - .offset:         48
        .size:           8
        .value_kind:     by_value
      - .offset:         56
        .size:           8
        .value_kind:     by_value
      - .offset:         64
        .size:           8
        .value_kind:     by_value
      - .address_space:  global
        .offset:         72
        .size:           8
        .value_kind:     global_buffer
      - .offset:         80
        .size:           8
        .value_kind:     by_value
      - .offset:         88
        .size:           4
        .value_kind:     by_value
    .group_segment_fixed_size: 128
    .kernarg_segment_align: 8
    .kernarg_segment_size: 92
    .language:       OpenCL C
    .language_version:
      - 2
      - 0
    .max_flat_workgroup_size: 512
    .name:           _ZL20rocblas_trmvt_kernelILi512ELb0ELb1ELb1EPKPKfPKPfS4_EviT3_lllT4_lllT5_li
    .private_segment_fixed_size: 0
    .sgpr_count:     34
    .sgpr_spill_count: 0
    .symbol:         _ZL20rocblas_trmvt_kernelILi512ELb0ELb1ELb1EPKPKfPKPfS4_EviT3_lllT4_lllT5_li.kd
    .uniform_work_group_size: 1
    .uses_dynamic_stack: false
    .vgpr_count:     20
    .vgpr_spill_count: 0
    .wavefront_size: 32
  - .args:
      - .offset:         0
        .size:           4
        .value_kind:     by_value
      - .address_space:  global
        .offset:         8
        .size:           8
        .value_kind:     global_buffer
      - .offset:         16
        .size:           8
        .value_kind:     by_value
      - .offset:         24
        .size:           8
        .value_kind:     by_value
      - .offset:         32
        .size:           8
        .value_kind:     by_value
      - .address_space:  global
        .offset:         40
        .size:           8
        .value_kind:     global_buffer
      - .offset:         48
        .size:           8
        .value_kind:     by_value
      - .offset:         56
        .size:           8
        .value_kind:     by_value
      - .offset:         64
        .size:           8
        .value_kind:     by_value
      - .address_space:  global
        .offset:         72
        .size:           8
        .value_kind:     global_buffer
      - .offset:         80
        .size:           8
        .value_kind:     by_value
      - .offset:         88
        .size:           4
        .value_kind:     by_value
      - .offset:         96
        .size:           4
        .value_kind:     hidden_block_count_x
      - .offset:         100
        .size:           4
        .value_kind:     hidden_block_count_y
      - .offset:         104
        .size:           4
        .value_kind:     hidden_block_count_z
      - .offset:         108
        .size:           2
        .value_kind:     hidden_group_size_x
      - .offset:         110
        .size:           2
        .value_kind:     hidden_group_size_y
      - .offset:         112
        .size:           2
        .value_kind:     hidden_group_size_z
      - .offset:         114
        .size:           2
        .value_kind:     hidden_remainder_x
      - .offset:         116
        .size:           2
        .value_kind:     hidden_remainder_y
      - .offset:         118
        .size:           2
        .value_kind:     hidden_remainder_z
      - .offset:         136
        .size:           8
        .value_kind:     hidden_global_offset_x
      - .offset:         144
        .size:           8
        .value_kind:     hidden_global_offset_y
      - .offset:         152
        .size:           8
        .value_kind:     hidden_global_offset_z
      - .offset:         160
        .size:           2
        .value_kind:     hidden_grid_dims
    .group_segment_fixed_size: 4096
    .kernarg_segment_align: 8
    .kernarg_segment_size: 352
    .language:       OpenCL C
    .language_version:
      - 2
      - 0
    .max_flat_workgroup_size: 1024
    .name:           _ZL20rocblas_trmvn_kernelILi64ELi16ELb0ELb0EPKPKfPKPfS4_EviT3_lllT4_lllT5_li
    .private_segment_fixed_size: 0
    .sgpr_count:     27
    .sgpr_spill_count: 0
    .symbol:         _ZL20rocblas_trmvn_kernelILi64ELi16ELb0ELb0EPKPKfPKPfS4_EviT3_lllT4_lllT5_li.kd
    .uniform_work_group_size: 1
    .uses_dynamic_stack: false
    .vgpr_count:     24
    .vgpr_spill_count: 0
    .wavefront_size: 32
  - .args:
      - .offset:         0
        .size:           4
        .value_kind:     by_value
      - .address_space:  global
        .offset:         8
        .size:           8
        .value_kind:     global_buffer
      - .offset:         16
        .size:           8
        .value_kind:     by_value
      - .offset:         24
        .size:           8
        .value_kind:     by_value
      - .offset:         32
        .size:           8
        .value_kind:     by_value
      - .address_space:  global
        .offset:         40
        .size:           8
        .value_kind:     global_buffer
      - .offset:         48
        .size:           8
        .value_kind:     by_value
      - .offset:         56
        .size:           8
        .value_kind:     by_value
      - .offset:         64
        .size:           8
        .value_kind:     by_value
      - .address_space:  global
        .offset:         72
        .size:           8
        .value_kind:     global_buffer
      - .offset:         80
        .size:           8
        .value_kind:     by_value
      - .offset:         88
        .size:           4
        .value_kind:     by_value
    .group_segment_fixed_size: 128
    .kernarg_segment_align: 8
    .kernarg_segment_size: 92
    .language:       OpenCL C
    .language_version:
      - 2
      - 0
    .max_flat_workgroup_size: 512
    .name:           _ZL20rocblas_trmvt_kernelILi512ELb0ELb0ELb0EPKPKfPKPfS4_EviT3_lllT4_lllT5_li
    .private_segment_fixed_size: 0
    .sgpr_count:     34
    .sgpr_spill_count: 0
    .symbol:         _ZL20rocblas_trmvt_kernelILi512ELb0ELb0ELb0EPKPKfPKPfS4_EviT3_lllT4_lllT5_li.kd
    .uniform_work_group_size: 1
    .uses_dynamic_stack: false
    .vgpr_count:     22
    .vgpr_spill_count: 0
    .wavefront_size: 32
  - .args:
      - .offset:         0
        .size:           4
        .value_kind:     by_value
      - .address_space:  global
        .offset:         8
        .size:           8
        .value_kind:     global_buffer
      - .offset:         16
        .size:           8
        .value_kind:     by_value
      - .offset:         24
        .size:           8
        .value_kind:     by_value
      - .offset:         32
        .size:           8
        .value_kind:     by_value
      - .address_space:  global
        .offset:         40
        .size:           8
        .value_kind:     global_buffer
      - .offset:         48
        .size:           8
        .value_kind:     by_value
      - .offset:         56
        .size:           8
        .value_kind:     by_value
      - .offset:         64
        .size:           8
        .value_kind:     by_value
      - .address_space:  global
        .offset:         72
        .size:           8
        .value_kind:     global_buffer
      - .offset:         80
        .size:           8
        .value_kind:     by_value
      - .offset:         88
        .size:           4
        .value_kind:     by_value
    .group_segment_fixed_size: 128
    .kernarg_segment_align: 8
    .kernarg_segment_size: 92
    .language:       OpenCL C
    .language_version:
      - 2
      - 0
    .max_flat_workgroup_size: 512
    .name:           _ZL20rocblas_trmvt_kernelILi512ELb0ELb1ELb0EPKPKfPKPfS4_EviT3_lllT4_lllT5_li
    .private_segment_fixed_size: 0
    .sgpr_count:     34
    .sgpr_spill_count: 0
    .symbol:         _ZL20rocblas_trmvt_kernelILi512ELb0ELb1ELb0EPKPKfPKPfS4_EviT3_lllT4_lllT5_li.kd
    .uniform_work_group_size: 1
    .uses_dynamic_stack: false
    .vgpr_count:     22
    .vgpr_spill_count: 0
    .wavefront_size: 32
  - .args:
      - .offset:         0
        .size:           4
        .value_kind:     by_value
      - .address_space:  global
        .offset:         8
        .size:           8
        .value_kind:     global_buffer
      - .offset:         16
        .size:           8
        .value_kind:     by_value
      - .offset:         24
        .size:           8
        .value_kind:     by_value
      - .offset:         32
        .size:           8
        .value_kind:     by_value
      - .address_space:  global
        .offset:         40
        .size:           8
        .value_kind:     global_buffer
      - .offset:         48
        .size:           8
        .value_kind:     by_value
      - .offset:         56
        .size:           8
        .value_kind:     by_value
      - .offset:         64
        .size:           8
        .value_kind:     by_value
      - .address_space:  global
        .offset:         72
        .size:           8
        .value_kind:     global_buffer
      - .offset:         80
        .size:           8
        .value_kind:     by_value
      - .offset:         88
        .size:           4
        .value_kind:     by_value
      - .offset:         96
        .size:           4
        .value_kind:     hidden_block_count_x
      - .offset:         100
        .size:           4
        .value_kind:     hidden_block_count_y
      - .offset:         104
        .size:           4
        .value_kind:     hidden_block_count_z
      - .offset:         108
        .size:           2
        .value_kind:     hidden_group_size_x
      - .offset:         110
        .size:           2
        .value_kind:     hidden_group_size_y
      - .offset:         112
        .size:           2
        .value_kind:     hidden_group_size_z
      - .offset:         114
        .size:           2
        .value_kind:     hidden_remainder_x
      - .offset:         116
        .size:           2
        .value_kind:     hidden_remainder_y
      - .offset:         118
        .size:           2
        .value_kind:     hidden_remainder_z
      - .offset:         136
        .size:           8
        .value_kind:     hidden_global_offset_x
      - .offset:         144
        .size:           8
        .value_kind:     hidden_global_offset_y
      - .offset:         152
        .size:           8
        .value_kind:     hidden_global_offset_z
      - .offset:         160
        .size:           2
        .value_kind:     hidden_grid_dims
    .group_segment_fixed_size: 4096
    .kernarg_segment_align: 8
    .kernarg_segment_size: 352
    .language:       OpenCL C
    .language_version:
      - 2
      - 0
    .max_flat_workgroup_size: 1024
    .name:           _ZL20rocblas_trmvn_kernelILi64ELi16ELb1ELb1EPKPKfPKPfS4_EviT3_lllT4_lllT5_li
    .private_segment_fixed_size: 0
    .sgpr_count:     26
    .sgpr_spill_count: 0
    .symbol:         _ZL20rocblas_trmvn_kernelILi64ELi16ELb1ELb1EPKPKfPKPfS4_EviT3_lllT4_lllT5_li.kd
    .uniform_work_group_size: 1
    .uses_dynamic_stack: false
    .vgpr_count:     21
    .vgpr_spill_count: 0
    .wavefront_size: 32
  - .args:
      - .offset:         0
        .size:           4
        .value_kind:     by_value
      - .address_space:  global
        .offset:         8
        .size:           8
        .value_kind:     global_buffer
      - .offset:         16
        .size:           8
        .value_kind:     by_value
      - .offset:         24
        .size:           8
        .value_kind:     by_value
      - .offset:         32
        .size:           8
        .value_kind:     by_value
      - .address_space:  global
        .offset:         40
        .size:           8
        .value_kind:     global_buffer
      - .offset:         48
        .size:           8
        .value_kind:     by_value
      - .offset:         56
        .size:           8
        .value_kind:     by_value
      - .offset:         64
        .size:           8
        .value_kind:     by_value
      - .address_space:  global
        .offset:         72
        .size:           8
        .value_kind:     global_buffer
      - .offset:         80
        .size:           8
        .value_kind:     by_value
      - .offset:         88
        .size:           4
        .value_kind:     by_value
    .group_segment_fixed_size: 128
    .kernarg_segment_align: 8
    .kernarg_segment_size: 92
    .language:       OpenCL C
    .language_version:
      - 2
      - 0
    .max_flat_workgroup_size: 512
    .name:           _ZL20rocblas_trmvt_kernelILi512ELb1ELb0ELb1EPKPKfPKPfS4_EviT3_lllT4_lllT5_li
    .private_segment_fixed_size: 0
    .sgpr_count:     34
    .sgpr_spill_count: 0
    .symbol:         _ZL20rocblas_trmvt_kernelILi512ELb1ELb0ELb1EPKPKfPKPfS4_EviT3_lllT4_lllT5_li.kd
    .uniform_work_group_size: 1
    .uses_dynamic_stack: false
    .vgpr_count:     20
    .vgpr_spill_count: 0
    .wavefront_size: 32
  - .args:
      - .offset:         0
        .size:           4
        .value_kind:     by_value
      - .address_space:  global
        .offset:         8
        .size:           8
        .value_kind:     global_buffer
      - .offset:         16
        .size:           8
        .value_kind:     by_value
      - .offset:         24
        .size:           8
        .value_kind:     by_value
      - .offset:         32
        .size:           8
        .value_kind:     by_value
      - .address_space:  global
        .offset:         40
        .size:           8
        .value_kind:     global_buffer
      - .offset:         48
        .size:           8
        .value_kind:     by_value
      - .offset:         56
        .size:           8
        .value_kind:     by_value
      - .offset:         64
        .size:           8
        .value_kind:     by_value
      - .address_space:  global
        .offset:         72
        .size:           8
        .value_kind:     global_buffer
      - .offset:         80
        .size:           8
        .value_kind:     by_value
      - .offset:         88
        .size:           4
        .value_kind:     by_value
    .group_segment_fixed_size: 128
    .kernarg_segment_align: 8
    .kernarg_segment_size: 92
    .language:       OpenCL C
    .language_version:
      - 2
      - 0
    .max_flat_workgroup_size: 512
    .name:           _ZL20rocblas_trmvt_kernelILi512ELb1ELb1ELb1EPKPKfPKPfS4_EviT3_lllT4_lllT5_li
    .private_segment_fixed_size: 0
    .sgpr_count:     34
    .sgpr_spill_count: 0
    .symbol:         _ZL20rocblas_trmvt_kernelILi512ELb1ELb1ELb1EPKPKfPKPfS4_EviT3_lllT4_lllT5_li.kd
    .uniform_work_group_size: 1
    .uses_dynamic_stack: false
    .vgpr_count:     20
    .vgpr_spill_count: 0
    .wavefront_size: 32
  - .args:
      - .offset:         0
        .size:           4
        .value_kind:     by_value
      - .address_space:  global
        .offset:         8
        .size:           8
        .value_kind:     global_buffer
      - .offset:         16
        .size:           8
        .value_kind:     by_value
      - .offset:         24
        .size:           8
        .value_kind:     by_value
      - .offset:         32
        .size:           8
        .value_kind:     by_value
      - .address_space:  global
        .offset:         40
        .size:           8
        .value_kind:     global_buffer
      - .offset:         48
        .size:           8
        .value_kind:     by_value
      - .offset:         56
        .size:           8
        .value_kind:     by_value
      - .offset:         64
        .size:           8
        .value_kind:     by_value
      - .address_space:  global
        .offset:         72
        .size:           8
        .value_kind:     global_buffer
      - .offset:         80
        .size:           8
        .value_kind:     by_value
      - .offset:         88
        .size:           4
        .value_kind:     by_value
      - .offset:         96
        .size:           4
        .value_kind:     hidden_block_count_x
      - .offset:         100
        .size:           4
        .value_kind:     hidden_block_count_y
      - .offset:         104
        .size:           4
        .value_kind:     hidden_block_count_z
      - .offset:         108
        .size:           2
        .value_kind:     hidden_group_size_x
      - .offset:         110
        .size:           2
        .value_kind:     hidden_group_size_y
      - .offset:         112
        .size:           2
        .value_kind:     hidden_group_size_z
      - .offset:         114
        .size:           2
        .value_kind:     hidden_remainder_x
      - .offset:         116
        .size:           2
        .value_kind:     hidden_remainder_y
      - .offset:         118
        .size:           2
        .value_kind:     hidden_remainder_z
      - .offset:         136
        .size:           8
        .value_kind:     hidden_global_offset_x
      - .offset:         144
        .size:           8
        .value_kind:     hidden_global_offset_y
      - .offset:         152
        .size:           8
        .value_kind:     hidden_global_offset_z
      - .offset:         160
        .size:           2
        .value_kind:     hidden_grid_dims
    .group_segment_fixed_size: 4096
    .kernarg_segment_align: 8
    .kernarg_segment_size: 352
    .language:       OpenCL C
    .language_version:
      - 2
      - 0
    .max_flat_workgroup_size: 1024
    .name:           _ZL20rocblas_trmvn_kernelILi64ELi16ELb1ELb0EPKPKfPKPfS4_EviT3_lllT4_lllT5_li
    .private_segment_fixed_size: 0
    .sgpr_count:     27
    .sgpr_spill_count: 0
    .symbol:         _ZL20rocblas_trmvn_kernelILi64ELi16ELb1ELb0EPKPKfPKPfS4_EviT3_lllT4_lllT5_li.kd
    .uniform_work_group_size: 1
    .uses_dynamic_stack: false
    .vgpr_count:     24
    .vgpr_spill_count: 0
    .wavefront_size: 32
  - .args:
      - .offset:         0
        .size:           4
        .value_kind:     by_value
      - .address_space:  global
        .offset:         8
        .size:           8
        .value_kind:     global_buffer
      - .offset:         16
        .size:           8
        .value_kind:     by_value
      - .offset:         24
        .size:           8
        .value_kind:     by_value
      - .offset:         32
        .size:           8
        .value_kind:     by_value
      - .address_space:  global
        .offset:         40
        .size:           8
        .value_kind:     global_buffer
      - .offset:         48
        .size:           8
        .value_kind:     by_value
      - .offset:         56
        .size:           8
        .value_kind:     by_value
      - .offset:         64
        .size:           8
        .value_kind:     by_value
      - .address_space:  global
        .offset:         72
        .size:           8
        .value_kind:     global_buffer
      - .offset:         80
        .size:           8
        .value_kind:     by_value
      - .offset:         88
        .size:           4
        .value_kind:     by_value
    .group_segment_fixed_size: 128
    .kernarg_segment_align: 8
    .kernarg_segment_size: 92
    .language:       OpenCL C
    .language_version:
      - 2
      - 0
    .max_flat_workgroup_size: 512
    .name:           _ZL20rocblas_trmvt_kernelILi512ELb1ELb0ELb0EPKPKfPKPfS4_EviT3_lllT4_lllT5_li
    .private_segment_fixed_size: 0
    .sgpr_count:     34
    .sgpr_spill_count: 0
    .symbol:         _ZL20rocblas_trmvt_kernelILi512ELb1ELb0ELb0EPKPKfPKPfS4_EviT3_lllT4_lllT5_li.kd
    .uniform_work_group_size: 1
    .uses_dynamic_stack: false
    .vgpr_count:     22
    .vgpr_spill_count: 0
    .wavefront_size: 32
  - .args:
      - .offset:         0
        .size:           4
        .value_kind:     by_value
      - .address_space:  global
        .offset:         8
        .size:           8
        .value_kind:     global_buffer
      - .offset:         16
        .size:           8
        .value_kind:     by_value
      - .offset:         24
        .size:           8
        .value_kind:     by_value
      - .offset:         32
        .size:           8
        .value_kind:     by_value
      - .address_space:  global
        .offset:         40
        .size:           8
        .value_kind:     global_buffer
      - .offset:         48
        .size:           8
        .value_kind:     by_value
      - .offset:         56
        .size:           8
        .value_kind:     by_value
      - .offset:         64
        .size:           8
        .value_kind:     by_value
      - .address_space:  global
        .offset:         72
        .size:           8
        .value_kind:     global_buffer
      - .offset:         80
        .size:           8
        .value_kind:     by_value
      - .offset:         88
        .size:           4
        .value_kind:     by_value
    .group_segment_fixed_size: 128
    .kernarg_segment_align: 8
    .kernarg_segment_size: 92
    .language:       OpenCL C
    .language_version:
      - 2
      - 0
    .max_flat_workgroup_size: 512
    .name:           _ZL20rocblas_trmvt_kernelILi512ELb1ELb1ELb0EPKPKfPKPfS4_EviT3_lllT4_lllT5_li
    .private_segment_fixed_size: 0
    .sgpr_count:     34
    .sgpr_spill_count: 0
    .symbol:         _ZL20rocblas_trmvt_kernelILi512ELb1ELb1ELb0EPKPKfPKPfS4_EviT3_lllT4_lllT5_li.kd
    .uniform_work_group_size: 1
    .uses_dynamic_stack: false
    .vgpr_count:     22
    .vgpr_spill_count: 0
    .wavefront_size: 32
  - .args:
      - .offset:         0
        .size:           4
        .value_kind:     by_value
      - .address_space:  global
        .offset:         8
        .size:           8
        .value_kind:     global_buffer
      - .offset:         16
        .size:           8
        .value_kind:     by_value
      - .offset:         24
        .size:           8
        .value_kind:     by_value
      - .offset:         32
        .size:           8
        .value_kind:     by_value
      - .address_space:  global
        .offset:         40
        .size:           8
        .value_kind:     global_buffer
      - .offset:         48
        .size:           8
        .value_kind:     by_value
      - .offset:         56
        .size:           8
        .value_kind:     by_value
      - .offset:         64
        .size:           8
        .value_kind:     by_value
      - .address_space:  global
        .offset:         72
        .size:           8
        .value_kind:     global_buffer
      - .offset:         80
        .size:           8
        .value_kind:     by_value
      - .offset:         88
        .size:           4
        .value_kind:     by_value
      - .offset:         96
        .size:           4
        .value_kind:     hidden_block_count_x
      - .offset:         100
        .size:           4
        .value_kind:     hidden_block_count_y
      - .offset:         104
        .size:           4
        .value_kind:     hidden_block_count_z
      - .offset:         108
        .size:           2
        .value_kind:     hidden_group_size_x
      - .offset:         110
        .size:           2
        .value_kind:     hidden_group_size_y
      - .offset:         112
        .size:           2
        .value_kind:     hidden_group_size_z
      - .offset:         114
        .size:           2
        .value_kind:     hidden_remainder_x
      - .offset:         116
        .size:           2
        .value_kind:     hidden_remainder_y
      - .offset:         118
        .size:           2
        .value_kind:     hidden_remainder_z
      - .offset:         136
        .size:           8
        .value_kind:     hidden_global_offset_x
      - .offset:         144
        .size:           8
        .value_kind:     hidden_global_offset_y
      - .offset:         152
        .size:           8
        .value_kind:     hidden_global_offset_z
      - .offset:         160
        .size:           2
        .value_kind:     hidden_grid_dims
    .group_segment_fixed_size: 8192
    .kernarg_segment_align: 8
    .kernarg_segment_size: 352
    .language:       OpenCL C
    .language_version:
      - 2
      - 0
    .max_flat_workgroup_size: 1024
    .name:           _ZL20rocblas_trmvn_kernelILi64ELi16ELb0ELb1EPKPKdPKPdS4_EviT3_lllT4_lllT5_li
    .private_segment_fixed_size: 0
    .sgpr_count:     26
    .sgpr_spill_count: 0
    .symbol:         _ZL20rocblas_trmvn_kernelILi64ELi16ELb0ELb1EPKPKdPKPdS4_EviT3_lllT4_lllT5_li.kd
    .uniform_work_group_size: 1
    .uses_dynamic_stack: false
    .vgpr_count:     24
    .vgpr_spill_count: 0
    .wavefront_size: 32
  - .args:
      - .offset:         0
        .size:           4
        .value_kind:     by_value
      - .address_space:  global
        .offset:         8
        .size:           8
        .value_kind:     global_buffer
      - .offset:         16
        .size:           8
        .value_kind:     by_value
      - .offset:         24
        .size:           8
        .value_kind:     by_value
      - .offset:         32
        .size:           8
        .value_kind:     by_value
      - .address_space:  global
        .offset:         40
        .size:           8
        .value_kind:     global_buffer
      - .offset:         48
        .size:           8
        .value_kind:     by_value
      - .offset:         56
        .size:           8
        .value_kind:     by_value
      - .offset:         64
        .size:           8
        .value_kind:     by_value
      - .address_space:  global
        .offset:         72
        .size:           8
        .value_kind:     global_buffer
      - .offset:         80
        .size:           8
        .value_kind:     by_value
      - .offset:         88
        .size:           4
        .value_kind:     by_value
    .group_segment_fixed_size: 256
    .kernarg_segment_align: 8
    .kernarg_segment_size: 92
    .language:       OpenCL C
    .language_version:
      - 2
      - 0
    .max_flat_workgroup_size: 512
    .name:           _ZL20rocblas_trmvt_kernelILi512ELb0ELb0ELb1EPKPKdPKPdS4_EviT3_lllT4_lllT5_li
    .private_segment_fixed_size: 0
    .sgpr_count:     34
    .sgpr_spill_count: 0
    .symbol:         _ZL20rocblas_trmvt_kernelILi512ELb0ELb0ELb1EPKPKdPKPdS4_EviT3_lllT4_lllT5_li.kd
    .uniform_work_group_size: 1
    .uses_dynamic_stack: false
    .vgpr_count:     26
    .vgpr_spill_count: 0
    .wavefront_size: 32
  - .args:
      - .offset:         0
        .size:           4
        .value_kind:     by_value
      - .address_space:  global
        .offset:         8
        .size:           8
        .value_kind:     global_buffer
      - .offset:         16
        .size:           8
        .value_kind:     by_value
      - .offset:         24
        .size:           8
        .value_kind:     by_value
      - .offset:         32
        .size:           8
        .value_kind:     by_value
      - .address_space:  global
        .offset:         40
        .size:           8
        .value_kind:     global_buffer
      - .offset:         48
        .size:           8
        .value_kind:     by_value
      - .offset:         56
        .size:           8
        .value_kind:     by_value
      - .offset:         64
        .size:           8
        .value_kind:     by_value
      - .address_space:  global
        .offset:         72
        .size:           8
        .value_kind:     global_buffer
      - .offset:         80
        .size:           8
        .value_kind:     by_value
      - .offset:         88
        .size:           4
        .value_kind:     by_value
    .group_segment_fixed_size: 256
    .kernarg_segment_align: 8
    .kernarg_segment_size: 92
    .language:       OpenCL C
    .language_version:
      - 2
      - 0
    .max_flat_workgroup_size: 512
    .name:           _ZL20rocblas_trmvt_kernelILi512ELb0ELb1ELb1EPKPKdPKPdS4_EviT3_lllT4_lllT5_li
    .private_segment_fixed_size: 0
    .sgpr_count:     34
    .sgpr_spill_count: 0
    .symbol:         _ZL20rocblas_trmvt_kernelILi512ELb0ELb1ELb1EPKPKdPKPdS4_EviT3_lllT4_lllT5_li.kd
    .uniform_work_group_size: 1
    .uses_dynamic_stack: false
    .vgpr_count:     26
    .vgpr_spill_count: 0
    .wavefront_size: 32
  - .args:
      - .offset:         0
        .size:           4
        .value_kind:     by_value
      - .address_space:  global
        .offset:         8
        .size:           8
        .value_kind:     global_buffer
      - .offset:         16
        .size:           8
        .value_kind:     by_value
      - .offset:         24
        .size:           8
        .value_kind:     by_value
      - .offset:         32
        .size:           8
        .value_kind:     by_value
      - .address_space:  global
        .offset:         40
        .size:           8
        .value_kind:     global_buffer
      - .offset:         48
        .size:           8
        .value_kind:     by_value
      - .offset:         56
        .size:           8
        .value_kind:     by_value
      - .offset:         64
        .size:           8
        .value_kind:     by_value
      - .address_space:  global
        .offset:         72
        .size:           8
        .value_kind:     global_buffer
      - .offset:         80
        .size:           8
        .value_kind:     by_value
      - .offset:         88
        .size:           4
        .value_kind:     by_value
      - .offset:         96
        .size:           4
        .value_kind:     hidden_block_count_x
      - .offset:         100
        .size:           4
        .value_kind:     hidden_block_count_y
      - .offset:         104
        .size:           4
        .value_kind:     hidden_block_count_z
      - .offset:         108
        .size:           2
        .value_kind:     hidden_group_size_x
      - .offset:         110
        .size:           2
        .value_kind:     hidden_group_size_y
      - .offset:         112
        .size:           2
        .value_kind:     hidden_group_size_z
      - .offset:         114
        .size:           2
        .value_kind:     hidden_remainder_x
      - .offset:         116
        .size:           2
        .value_kind:     hidden_remainder_y
      - .offset:         118
        .size:           2
        .value_kind:     hidden_remainder_z
      - .offset:         136
        .size:           8
        .value_kind:     hidden_global_offset_x
      - .offset:         144
        .size:           8
        .value_kind:     hidden_global_offset_y
      - .offset:         152
        .size:           8
        .value_kind:     hidden_global_offset_z
      - .offset:         160
        .size:           2
        .value_kind:     hidden_grid_dims
    .group_segment_fixed_size: 8192
    .kernarg_segment_align: 8
    .kernarg_segment_size: 352
    .language:       OpenCL C
    .language_version:
      - 2
      - 0
    .max_flat_workgroup_size: 1024
    .name:           _ZL20rocblas_trmvn_kernelILi64ELi16ELb0ELb0EPKPKdPKPdS4_EviT3_lllT4_lllT5_li
    .private_segment_fixed_size: 0
    .sgpr_count:     27
    .sgpr_spill_count: 0
    .symbol:         _ZL20rocblas_trmvn_kernelILi64ELi16ELb0ELb0EPKPKdPKPdS4_EviT3_lllT4_lllT5_li.kd
    .uniform_work_group_size: 1
    .uses_dynamic_stack: false
    .vgpr_count:     26
    .vgpr_spill_count: 0
    .wavefront_size: 32
  - .args:
      - .offset:         0
        .size:           4
        .value_kind:     by_value
      - .address_space:  global
        .offset:         8
        .size:           8
        .value_kind:     global_buffer
      - .offset:         16
        .size:           8
        .value_kind:     by_value
      - .offset:         24
        .size:           8
        .value_kind:     by_value
      - .offset:         32
        .size:           8
        .value_kind:     by_value
      - .address_space:  global
        .offset:         40
        .size:           8
        .value_kind:     global_buffer
      - .offset:         48
        .size:           8
        .value_kind:     by_value
      - .offset:         56
        .size:           8
        .value_kind:     by_value
      - .offset:         64
        .size:           8
        .value_kind:     by_value
      - .address_space:  global
        .offset:         72
        .size:           8
        .value_kind:     global_buffer
      - .offset:         80
        .size:           8
        .value_kind:     by_value
      - .offset:         88
        .size:           4
        .value_kind:     by_value
    .group_segment_fixed_size: 256
    .kernarg_segment_align: 8
    .kernarg_segment_size: 92
    .language:       OpenCL C
    .language_version:
      - 2
      - 0
    .max_flat_workgroup_size: 512
    .name:           _ZL20rocblas_trmvt_kernelILi512ELb0ELb0ELb0EPKPKdPKPdS4_EviT3_lllT4_lllT5_li
    .private_segment_fixed_size: 0
    .sgpr_count:     34
    .sgpr_spill_count: 0
    .symbol:         _ZL20rocblas_trmvt_kernelILi512ELb0ELb0ELb0EPKPKdPKPdS4_EviT3_lllT4_lllT5_li.kd
    .uniform_work_group_size: 1
    .uses_dynamic_stack: false
    .vgpr_count:     26
    .vgpr_spill_count: 0
    .wavefront_size: 32
  - .args:
      - .offset:         0
        .size:           4
        .value_kind:     by_value
      - .address_space:  global
        .offset:         8
        .size:           8
        .value_kind:     global_buffer
      - .offset:         16
        .size:           8
        .value_kind:     by_value
      - .offset:         24
        .size:           8
        .value_kind:     by_value
      - .offset:         32
        .size:           8
        .value_kind:     by_value
      - .address_space:  global
        .offset:         40
        .size:           8
        .value_kind:     global_buffer
      - .offset:         48
        .size:           8
        .value_kind:     by_value
      - .offset:         56
        .size:           8
        .value_kind:     by_value
      - .offset:         64
        .size:           8
        .value_kind:     by_value
      - .address_space:  global
        .offset:         72
        .size:           8
        .value_kind:     global_buffer
      - .offset:         80
        .size:           8
        .value_kind:     by_value
      - .offset:         88
        .size:           4
        .value_kind:     by_value
    .group_segment_fixed_size: 256
    .kernarg_segment_align: 8
    .kernarg_segment_size: 92
    .language:       OpenCL C
    .language_version:
      - 2
      - 0
    .max_flat_workgroup_size: 512
    .name:           _ZL20rocblas_trmvt_kernelILi512ELb0ELb1ELb0EPKPKdPKPdS4_EviT3_lllT4_lllT5_li
    .private_segment_fixed_size: 0
    .sgpr_count:     34
    .sgpr_spill_count: 0
    .symbol:         _ZL20rocblas_trmvt_kernelILi512ELb0ELb1ELb0EPKPKdPKPdS4_EviT3_lllT4_lllT5_li.kd
    .uniform_work_group_size: 1
    .uses_dynamic_stack: false
    .vgpr_count:     26
    .vgpr_spill_count: 0
    .wavefront_size: 32
  - .args:
      - .offset:         0
        .size:           4
        .value_kind:     by_value
      - .address_space:  global
        .offset:         8
        .size:           8
        .value_kind:     global_buffer
      - .offset:         16
        .size:           8
        .value_kind:     by_value
      - .offset:         24
        .size:           8
        .value_kind:     by_value
      - .offset:         32
        .size:           8
        .value_kind:     by_value
      - .address_space:  global
        .offset:         40
        .size:           8
        .value_kind:     global_buffer
      - .offset:         48
        .size:           8
        .value_kind:     by_value
      - .offset:         56
        .size:           8
        .value_kind:     by_value
      - .offset:         64
        .size:           8
        .value_kind:     by_value
      - .address_space:  global
        .offset:         72
        .size:           8
        .value_kind:     global_buffer
      - .offset:         80
        .size:           8
        .value_kind:     by_value
      - .offset:         88
        .size:           4
        .value_kind:     by_value
      - .offset:         96
        .size:           4
        .value_kind:     hidden_block_count_x
      - .offset:         100
        .size:           4
        .value_kind:     hidden_block_count_y
      - .offset:         104
        .size:           4
        .value_kind:     hidden_block_count_z
      - .offset:         108
        .size:           2
        .value_kind:     hidden_group_size_x
      - .offset:         110
        .size:           2
        .value_kind:     hidden_group_size_y
      - .offset:         112
        .size:           2
        .value_kind:     hidden_group_size_z
      - .offset:         114
        .size:           2
        .value_kind:     hidden_remainder_x
      - .offset:         116
        .size:           2
        .value_kind:     hidden_remainder_y
      - .offset:         118
        .size:           2
        .value_kind:     hidden_remainder_z
      - .offset:         136
        .size:           8
        .value_kind:     hidden_global_offset_x
      - .offset:         144
        .size:           8
        .value_kind:     hidden_global_offset_y
      - .offset:         152
        .size:           8
        .value_kind:     hidden_global_offset_z
      - .offset:         160
        .size:           2
        .value_kind:     hidden_grid_dims
    .group_segment_fixed_size: 8192
    .kernarg_segment_align: 8
    .kernarg_segment_size: 352
    .language:       OpenCL C
    .language_version:
      - 2
      - 0
    .max_flat_workgroup_size: 1024
    .name:           _ZL20rocblas_trmvn_kernelILi64ELi16ELb1ELb1EPKPKdPKPdS4_EviT3_lllT4_lllT5_li
    .private_segment_fixed_size: 0
    .sgpr_count:     26
    .sgpr_spill_count: 0
    .symbol:         _ZL20rocblas_trmvn_kernelILi64ELi16ELb1ELb1EPKPKdPKPdS4_EviT3_lllT4_lllT5_li.kd
    .uniform_work_group_size: 1
    .uses_dynamic_stack: false
    .vgpr_count:     24
    .vgpr_spill_count: 0
    .wavefront_size: 32
  - .args:
      - .offset:         0
        .size:           4
        .value_kind:     by_value
      - .address_space:  global
        .offset:         8
        .size:           8
        .value_kind:     global_buffer
      - .offset:         16
        .size:           8
        .value_kind:     by_value
      - .offset:         24
        .size:           8
        .value_kind:     by_value
      - .offset:         32
        .size:           8
        .value_kind:     by_value
      - .address_space:  global
        .offset:         40
        .size:           8
        .value_kind:     global_buffer
      - .offset:         48
        .size:           8
        .value_kind:     by_value
      - .offset:         56
        .size:           8
        .value_kind:     by_value
      - .offset:         64
        .size:           8
        .value_kind:     by_value
      - .address_space:  global
        .offset:         72
        .size:           8
        .value_kind:     global_buffer
      - .offset:         80
        .size:           8
        .value_kind:     by_value
      - .offset:         88
        .size:           4
        .value_kind:     by_value
    .group_segment_fixed_size: 256
    .kernarg_segment_align: 8
    .kernarg_segment_size: 92
    .language:       OpenCL C
    .language_version:
      - 2
      - 0
    .max_flat_workgroup_size: 512
    .name:           _ZL20rocblas_trmvt_kernelILi512ELb1ELb0ELb1EPKPKdPKPdS4_EviT3_lllT4_lllT5_li
    .private_segment_fixed_size: 0
    .sgpr_count:     34
    .sgpr_spill_count: 0
    .symbol:         _ZL20rocblas_trmvt_kernelILi512ELb1ELb0ELb1EPKPKdPKPdS4_EviT3_lllT4_lllT5_li.kd
    .uniform_work_group_size: 1
    .uses_dynamic_stack: false
    .vgpr_count:     26
    .vgpr_spill_count: 0
    .wavefront_size: 32
  - .args:
      - .offset:         0
        .size:           4
        .value_kind:     by_value
      - .address_space:  global
        .offset:         8
        .size:           8
        .value_kind:     global_buffer
      - .offset:         16
        .size:           8
        .value_kind:     by_value
      - .offset:         24
        .size:           8
        .value_kind:     by_value
      - .offset:         32
        .size:           8
        .value_kind:     by_value
      - .address_space:  global
        .offset:         40
        .size:           8
        .value_kind:     global_buffer
      - .offset:         48
        .size:           8
        .value_kind:     by_value
      - .offset:         56
        .size:           8
        .value_kind:     by_value
      - .offset:         64
        .size:           8
        .value_kind:     by_value
      - .address_space:  global
        .offset:         72
        .size:           8
        .value_kind:     global_buffer
      - .offset:         80
        .size:           8
        .value_kind:     by_value
      - .offset:         88
        .size:           4
        .value_kind:     by_value
    .group_segment_fixed_size: 256
    .kernarg_segment_align: 8
    .kernarg_segment_size: 92
    .language:       OpenCL C
    .language_version:
      - 2
      - 0
    .max_flat_workgroup_size: 512
    .name:           _ZL20rocblas_trmvt_kernelILi512ELb1ELb1ELb1EPKPKdPKPdS4_EviT3_lllT4_lllT5_li
    .private_segment_fixed_size: 0
    .sgpr_count:     34
    .sgpr_spill_count: 0
    .symbol:         _ZL20rocblas_trmvt_kernelILi512ELb1ELb1ELb1EPKPKdPKPdS4_EviT3_lllT4_lllT5_li.kd
    .uniform_work_group_size: 1
    .uses_dynamic_stack: false
    .vgpr_count:     26
    .vgpr_spill_count: 0
    .wavefront_size: 32
  - .args:
      - .offset:         0
        .size:           4
        .value_kind:     by_value
      - .address_space:  global
        .offset:         8
        .size:           8
        .value_kind:     global_buffer
      - .offset:         16
        .size:           8
        .value_kind:     by_value
      - .offset:         24
        .size:           8
        .value_kind:     by_value
      - .offset:         32
        .size:           8
        .value_kind:     by_value
      - .address_space:  global
        .offset:         40
        .size:           8
        .value_kind:     global_buffer
      - .offset:         48
        .size:           8
        .value_kind:     by_value
      - .offset:         56
        .size:           8
        .value_kind:     by_value
      - .offset:         64
        .size:           8
        .value_kind:     by_value
      - .address_space:  global
        .offset:         72
        .size:           8
        .value_kind:     global_buffer
      - .offset:         80
        .size:           8
        .value_kind:     by_value
      - .offset:         88
        .size:           4
        .value_kind:     by_value
      - .offset:         96
        .size:           4
        .value_kind:     hidden_block_count_x
      - .offset:         100
        .size:           4
        .value_kind:     hidden_block_count_y
      - .offset:         104
        .size:           4
        .value_kind:     hidden_block_count_z
      - .offset:         108
        .size:           2
        .value_kind:     hidden_group_size_x
      - .offset:         110
        .size:           2
        .value_kind:     hidden_group_size_y
      - .offset:         112
        .size:           2
        .value_kind:     hidden_group_size_z
      - .offset:         114
        .size:           2
        .value_kind:     hidden_remainder_x
      - .offset:         116
        .size:           2
        .value_kind:     hidden_remainder_y
      - .offset:         118
        .size:           2
        .value_kind:     hidden_remainder_z
      - .offset:         136
        .size:           8
        .value_kind:     hidden_global_offset_x
      - .offset:         144
        .size:           8
        .value_kind:     hidden_global_offset_y
      - .offset:         152
        .size:           8
        .value_kind:     hidden_global_offset_z
      - .offset:         160
        .size:           2
        .value_kind:     hidden_grid_dims
    .group_segment_fixed_size: 8192
    .kernarg_segment_align: 8
    .kernarg_segment_size: 352
    .language:       OpenCL C
    .language_version:
      - 2
      - 0
    .max_flat_workgroup_size: 1024
    .name:           _ZL20rocblas_trmvn_kernelILi64ELi16ELb1ELb0EPKPKdPKPdS4_EviT3_lllT4_lllT5_li
    .private_segment_fixed_size: 0
    .sgpr_count:     27
    .sgpr_spill_count: 0
    .symbol:         _ZL20rocblas_trmvn_kernelILi64ELi16ELb1ELb0EPKPKdPKPdS4_EviT3_lllT4_lllT5_li.kd
    .uniform_work_group_size: 1
    .uses_dynamic_stack: false
    .vgpr_count:     26
    .vgpr_spill_count: 0
    .wavefront_size: 32
  - .args:
      - .offset:         0
        .size:           4
        .value_kind:     by_value
      - .address_space:  global
        .offset:         8
        .size:           8
        .value_kind:     global_buffer
      - .offset:         16
        .size:           8
        .value_kind:     by_value
      - .offset:         24
        .size:           8
        .value_kind:     by_value
      - .offset:         32
        .size:           8
        .value_kind:     by_value
      - .address_space:  global
        .offset:         40
        .size:           8
        .value_kind:     global_buffer
      - .offset:         48
        .size:           8
        .value_kind:     by_value
      - .offset:         56
        .size:           8
        .value_kind:     by_value
      - .offset:         64
        .size:           8
        .value_kind:     by_value
      - .address_space:  global
        .offset:         72
        .size:           8
        .value_kind:     global_buffer
      - .offset:         80
        .size:           8
        .value_kind:     by_value
      - .offset:         88
        .size:           4
        .value_kind:     by_value
    .group_segment_fixed_size: 256
    .kernarg_segment_align: 8
    .kernarg_segment_size: 92
    .language:       OpenCL C
    .language_version:
      - 2
      - 0
    .max_flat_workgroup_size: 512
    .name:           _ZL20rocblas_trmvt_kernelILi512ELb1ELb0ELb0EPKPKdPKPdS4_EviT3_lllT4_lllT5_li
    .private_segment_fixed_size: 0
    .sgpr_count:     34
    .sgpr_spill_count: 0
    .symbol:         _ZL20rocblas_trmvt_kernelILi512ELb1ELb0ELb0EPKPKdPKPdS4_EviT3_lllT4_lllT5_li.kd
    .uniform_work_group_size: 1
    .uses_dynamic_stack: false
    .vgpr_count:     26
    .vgpr_spill_count: 0
    .wavefront_size: 32
  - .args:
      - .offset:         0
        .size:           4
        .value_kind:     by_value
      - .address_space:  global
        .offset:         8
        .size:           8
        .value_kind:     global_buffer
      - .offset:         16
        .size:           8
        .value_kind:     by_value
      - .offset:         24
        .size:           8
        .value_kind:     by_value
      - .offset:         32
        .size:           8
        .value_kind:     by_value
      - .address_space:  global
        .offset:         40
        .size:           8
        .value_kind:     global_buffer
      - .offset:         48
        .size:           8
        .value_kind:     by_value
      - .offset:         56
        .size:           8
        .value_kind:     by_value
      - .offset:         64
        .size:           8
        .value_kind:     by_value
      - .address_space:  global
        .offset:         72
        .size:           8
        .value_kind:     global_buffer
      - .offset:         80
        .size:           8
        .value_kind:     by_value
      - .offset:         88
        .size:           4
        .value_kind:     by_value
    .group_segment_fixed_size: 256
    .kernarg_segment_align: 8
    .kernarg_segment_size: 92
    .language:       OpenCL C
    .language_version:
      - 2
      - 0
    .max_flat_workgroup_size: 512
    .name:           _ZL20rocblas_trmvt_kernelILi512ELb1ELb1ELb0EPKPKdPKPdS4_EviT3_lllT4_lllT5_li
    .private_segment_fixed_size: 0
    .sgpr_count:     34
    .sgpr_spill_count: 0
    .symbol:         _ZL20rocblas_trmvt_kernelILi512ELb1ELb1ELb0EPKPKdPKPdS4_EviT3_lllT4_lllT5_li.kd
    .uniform_work_group_size: 1
    .uses_dynamic_stack: false
    .vgpr_count:     26
    .vgpr_spill_count: 0
    .wavefront_size: 32
  - .args:
      - .offset:         0
        .size:           4
        .value_kind:     by_value
      - .address_space:  global
        .offset:         8
        .size:           8
        .value_kind:     global_buffer
      - .offset:         16
        .size:           8
        .value_kind:     by_value
      - .offset:         24
        .size:           8
        .value_kind:     by_value
      - .offset:         32
        .size:           8
        .value_kind:     by_value
      - .address_space:  global
        .offset:         40
        .size:           8
        .value_kind:     global_buffer
      - .offset:         48
        .size:           8
        .value_kind:     by_value
      - .offset:         56
        .size:           8
        .value_kind:     by_value
      - .offset:         64
        .size:           8
        .value_kind:     by_value
      - .address_space:  global
        .offset:         72
        .size:           8
        .value_kind:     global_buffer
      - .offset:         80
        .size:           8
        .value_kind:     by_value
      - .offset:         88
        .size:           4
        .value_kind:     by_value
      - .offset:         96
        .size:           4
        .value_kind:     hidden_block_count_x
      - .offset:         100
        .size:           4
        .value_kind:     hidden_block_count_y
      - .offset:         104
        .size:           4
        .value_kind:     hidden_block_count_z
      - .offset:         108
        .size:           2
        .value_kind:     hidden_group_size_x
      - .offset:         110
        .size:           2
        .value_kind:     hidden_group_size_y
      - .offset:         112
        .size:           2
        .value_kind:     hidden_group_size_z
      - .offset:         114
        .size:           2
        .value_kind:     hidden_remainder_x
      - .offset:         116
        .size:           2
        .value_kind:     hidden_remainder_y
      - .offset:         118
        .size:           2
        .value_kind:     hidden_remainder_z
      - .offset:         136
        .size:           8
        .value_kind:     hidden_global_offset_x
      - .offset:         144
        .size:           8
        .value_kind:     hidden_global_offset_y
      - .offset:         152
        .size:           8
        .value_kind:     hidden_global_offset_z
      - .offset:         160
        .size:           2
        .value_kind:     hidden_grid_dims
    .group_segment_fixed_size: 8192
    .kernarg_segment_align: 8
    .kernarg_segment_size: 352
    .language:       OpenCL C
    .language_version:
      - 2
      - 0
    .max_flat_workgroup_size: 1024
    .name:           _ZL20rocblas_trmvn_kernelILi64ELi16ELb0ELb1EPKPK19rocblas_complex_numIfEPKPS1_S6_EviT3_lllT4_lllT5_li
    .private_segment_fixed_size: 0
    .sgpr_count:     26
    .sgpr_spill_count: 0
    .symbol:         _ZL20rocblas_trmvn_kernelILi64ELi16ELb0ELb1EPKPK19rocblas_complex_numIfEPKPS1_S6_EviT3_lllT4_lllT5_li.kd
    .uniform_work_group_size: 1
    .uses_dynamic_stack: false
    .vgpr_count:     28
    .vgpr_spill_count: 0
    .wavefront_size: 32
  - .args:
      - .offset:         0
        .size:           4
        .value_kind:     by_value
      - .address_space:  global
        .offset:         8
        .size:           8
        .value_kind:     global_buffer
      - .offset:         16
        .size:           8
        .value_kind:     by_value
      - .offset:         24
        .size:           8
        .value_kind:     by_value
      - .offset:         32
        .size:           8
        .value_kind:     by_value
      - .address_space:  global
        .offset:         40
        .size:           8
        .value_kind:     global_buffer
      - .offset:         48
        .size:           8
        .value_kind:     by_value
      - .offset:         56
        .size:           8
        .value_kind:     by_value
      - .offset:         64
        .size:           8
        .value_kind:     by_value
      - .address_space:  global
        .offset:         72
        .size:           8
        .value_kind:     global_buffer
      - .offset:         80
        .size:           8
        .value_kind:     by_value
      - .offset:         88
        .size:           4
        .value_kind:     by_value
    .group_segment_fixed_size: 256
    .kernarg_segment_align: 8
    .kernarg_segment_size: 92
    .language:       OpenCL C
    .language_version:
      - 2
      - 0
    .max_flat_workgroup_size: 512
    .name:           _ZL20rocblas_trmvt_kernelILi512ELb0ELb0ELb1EPKPK19rocblas_complex_numIfEPKPS1_S6_EviT3_lllT4_lllT5_li
    .private_segment_fixed_size: 0
    .sgpr_count:     34
    .sgpr_spill_count: 0
    .symbol:         _ZL20rocblas_trmvt_kernelILi512ELb0ELb0ELb1EPKPK19rocblas_complex_numIfEPKPS1_S6_EviT3_lllT4_lllT5_li.kd
    .uniform_work_group_size: 1
    .uses_dynamic_stack: false
    .vgpr_count:     30
    .vgpr_spill_count: 0
    .wavefront_size: 32
  - .args:
      - .offset:         0
        .size:           4
        .value_kind:     by_value
      - .address_space:  global
        .offset:         8
        .size:           8
        .value_kind:     global_buffer
      - .offset:         16
        .size:           8
        .value_kind:     by_value
      - .offset:         24
        .size:           8
        .value_kind:     by_value
      - .offset:         32
        .size:           8
        .value_kind:     by_value
      - .address_space:  global
        .offset:         40
        .size:           8
        .value_kind:     global_buffer
      - .offset:         48
        .size:           8
        .value_kind:     by_value
      - .offset:         56
        .size:           8
        .value_kind:     by_value
      - .offset:         64
        .size:           8
        .value_kind:     by_value
      - .address_space:  global
        .offset:         72
        .size:           8
        .value_kind:     global_buffer
      - .offset:         80
        .size:           8
        .value_kind:     by_value
      - .offset:         88
        .size:           4
        .value_kind:     by_value
    .group_segment_fixed_size: 256
    .kernarg_segment_align: 8
    .kernarg_segment_size: 92
    .language:       OpenCL C
    .language_version:
      - 2
      - 0
    .max_flat_workgroup_size: 512
    .name:           _ZL20rocblas_trmvt_kernelILi512ELb0ELb1ELb1EPKPK19rocblas_complex_numIfEPKPS1_S6_EviT3_lllT4_lllT5_li
    .private_segment_fixed_size: 0
    .sgpr_count:     30
    .sgpr_spill_count: 0
    .symbol:         _ZL20rocblas_trmvt_kernelILi512ELb0ELb1ELb1EPKPK19rocblas_complex_numIfEPKPS1_S6_EviT3_lllT4_lllT5_li.kd
    .uniform_work_group_size: 1
    .uses_dynamic_stack: false
    .vgpr_count:     30
    .vgpr_spill_count: 0
    .wavefront_size: 32
  - .args:
      - .offset:         0
        .size:           4
        .value_kind:     by_value
      - .address_space:  global
        .offset:         8
        .size:           8
        .value_kind:     global_buffer
      - .offset:         16
        .size:           8
        .value_kind:     by_value
      - .offset:         24
        .size:           8
        .value_kind:     by_value
      - .offset:         32
        .size:           8
        .value_kind:     by_value
      - .address_space:  global
        .offset:         40
        .size:           8
        .value_kind:     global_buffer
      - .offset:         48
        .size:           8
        .value_kind:     by_value
      - .offset:         56
        .size:           8
        .value_kind:     by_value
      - .offset:         64
        .size:           8
        .value_kind:     by_value
      - .address_space:  global
        .offset:         72
        .size:           8
        .value_kind:     global_buffer
      - .offset:         80
        .size:           8
        .value_kind:     by_value
      - .offset:         88
        .size:           4
        .value_kind:     by_value
      - .offset:         96
        .size:           4
        .value_kind:     hidden_block_count_x
      - .offset:         100
        .size:           4
        .value_kind:     hidden_block_count_y
      - .offset:         104
        .size:           4
        .value_kind:     hidden_block_count_z
      - .offset:         108
        .size:           2
        .value_kind:     hidden_group_size_x
      - .offset:         110
        .size:           2
        .value_kind:     hidden_group_size_y
      - .offset:         112
        .size:           2
        .value_kind:     hidden_group_size_z
      - .offset:         114
        .size:           2
        .value_kind:     hidden_remainder_x
      - .offset:         116
        .size:           2
        .value_kind:     hidden_remainder_y
      - .offset:         118
        .size:           2
        .value_kind:     hidden_remainder_z
      - .offset:         136
        .size:           8
        .value_kind:     hidden_global_offset_x
      - .offset:         144
        .size:           8
        .value_kind:     hidden_global_offset_y
      - .offset:         152
        .size:           8
        .value_kind:     hidden_global_offset_z
      - .offset:         160
        .size:           2
        .value_kind:     hidden_grid_dims
    .group_segment_fixed_size: 8192
    .kernarg_segment_align: 8
    .kernarg_segment_size: 352
    .language:       OpenCL C
    .language_version:
      - 2
      - 0
    .max_flat_workgroup_size: 1024
    .name:           _ZL20rocblas_trmvn_kernelILi64ELi16ELb0ELb0EPKPK19rocblas_complex_numIfEPKPS1_S6_EviT3_lllT4_lllT5_li
    .private_segment_fixed_size: 0
    .sgpr_count:     27
    .sgpr_spill_count: 0
    .symbol:         _ZL20rocblas_trmvn_kernelILi64ELi16ELb0ELb0EPKPK19rocblas_complex_numIfEPKPS1_S6_EviT3_lllT4_lllT5_li.kd
    .uniform_work_group_size: 1
    .uses_dynamic_stack: false
    .vgpr_count:     30
    .vgpr_spill_count: 0
    .wavefront_size: 32
  - .args:
      - .offset:         0
        .size:           4
        .value_kind:     by_value
      - .address_space:  global
        .offset:         8
        .size:           8
        .value_kind:     global_buffer
      - .offset:         16
        .size:           8
        .value_kind:     by_value
      - .offset:         24
        .size:           8
        .value_kind:     by_value
      - .offset:         32
        .size:           8
        .value_kind:     by_value
      - .address_space:  global
        .offset:         40
        .size:           8
        .value_kind:     global_buffer
      - .offset:         48
        .size:           8
        .value_kind:     by_value
      - .offset:         56
        .size:           8
        .value_kind:     by_value
      - .offset:         64
        .size:           8
        .value_kind:     by_value
      - .address_space:  global
        .offset:         72
        .size:           8
        .value_kind:     global_buffer
      - .offset:         80
        .size:           8
        .value_kind:     by_value
      - .offset:         88
        .size:           4
        .value_kind:     by_value
    .group_segment_fixed_size: 256
    .kernarg_segment_align: 8
    .kernarg_segment_size: 92
    .language:       OpenCL C
    .language_version:
      - 2
      - 0
    .max_flat_workgroup_size: 512
    .name:           _ZL20rocblas_trmvt_kernelILi512ELb0ELb0ELb0EPKPK19rocblas_complex_numIfEPKPS1_S6_EviT3_lllT4_lllT5_li
    .private_segment_fixed_size: 0
    .sgpr_count:     34
    .sgpr_spill_count: 0
    .symbol:         _ZL20rocblas_trmvt_kernelILi512ELb0ELb0ELb0EPKPK19rocblas_complex_numIfEPKPS1_S6_EviT3_lllT4_lllT5_li.kd
    .uniform_work_group_size: 1
    .uses_dynamic_stack: false
    .vgpr_count:     30
    .vgpr_spill_count: 0
    .wavefront_size: 32
  - .args:
      - .offset:         0
        .size:           4
        .value_kind:     by_value
      - .address_space:  global
        .offset:         8
        .size:           8
        .value_kind:     global_buffer
      - .offset:         16
        .size:           8
        .value_kind:     by_value
      - .offset:         24
        .size:           8
        .value_kind:     by_value
      - .offset:         32
        .size:           8
        .value_kind:     by_value
      - .address_space:  global
        .offset:         40
        .size:           8
        .value_kind:     global_buffer
      - .offset:         48
        .size:           8
        .value_kind:     by_value
      - .offset:         56
        .size:           8
        .value_kind:     by_value
      - .offset:         64
        .size:           8
        .value_kind:     by_value
      - .address_space:  global
        .offset:         72
        .size:           8
        .value_kind:     global_buffer
      - .offset:         80
        .size:           8
        .value_kind:     by_value
      - .offset:         88
        .size:           4
        .value_kind:     by_value
    .group_segment_fixed_size: 256
    .kernarg_segment_align: 8
    .kernarg_segment_size: 92
    .language:       OpenCL C
    .language_version:
      - 2
      - 0
    .max_flat_workgroup_size: 512
    .name:           _ZL20rocblas_trmvt_kernelILi512ELb0ELb1ELb0EPKPK19rocblas_complex_numIfEPKPS1_S6_EviT3_lllT4_lllT5_li
    .private_segment_fixed_size: 0
    .sgpr_count:     34
    .sgpr_spill_count: 0
    .symbol:         _ZL20rocblas_trmvt_kernelILi512ELb0ELb1ELb0EPKPK19rocblas_complex_numIfEPKPS1_S6_EviT3_lllT4_lllT5_li.kd
    .uniform_work_group_size: 1
    .uses_dynamic_stack: false
    .vgpr_count:     32
    .vgpr_spill_count: 0
    .wavefront_size: 32
  - .args:
      - .offset:         0
        .size:           4
        .value_kind:     by_value
      - .address_space:  global
        .offset:         8
        .size:           8
        .value_kind:     global_buffer
      - .offset:         16
        .size:           8
        .value_kind:     by_value
      - .offset:         24
        .size:           8
        .value_kind:     by_value
      - .offset:         32
        .size:           8
        .value_kind:     by_value
      - .address_space:  global
        .offset:         40
        .size:           8
        .value_kind:     global_buffer
      - .offset:         48
        .size:           8
        .value_kind:     by_value
      - .offset:         56
        .size:           8
        .value_kind:     by_value
      - .offset:         64
        .size:           8
        .value_kind:     by_value
      - .address_space:  global
        .offset:         72
        .size:           8
        .value_kind:     global_buffer
      - .offset:         80
        .size:           8
        .value_kind:     by_value
      - .offset:         88
        .size:           4
        .value_kind:     by_value
      - .offset:         96
        .size:           4
        .value_kind:     hidden_block_count_x
      - .offset:         100
        .size:           4
        .value_kind:     hidden_block_count_y
      - .offset:         104
        .size:           4
        .value_kind:     hidden_block_count_z
      - .offset:         108
        .size:           2
        .value_kind:     hidden_group_size_x
      - .offset:         110
        .size:           2
        .value_kind:     hidden_group_size_y
      - .offset:         112
        .size:           2
        .value_kind:     hidden_group_size_z
      - .offset:         114
        .size:           2
        .value_kind:     hidden_remainder_x
      - .offset:         116
        .size:           2
        .value_kind:     hidden_remainder_y
      - .offset:         118
        .size:           2
        .value_kind:     hidden_remainder_z
      - .offset:         136
        .size:           8
        .value_kind:     hidden_global_offset_x
      - .offset:         144
        .size:           8
        .value_kind:     hidden_global_offset_y
      - .offset:         152
        .size:           8
        .value_kind:     hidden_global_offset_z
      - .offset:         160
        .size:           2
        .value_kind:     hidden_grid_dims
    .group_segment_fixed_size: 8192
    .kernarg_segment_align: 8
    .kernarg_segment_size: 352
    .language:       OpenCL C
    .language_version:
      - 2
      - 0
    .max_flat_workgroup_size: 1024
    .name:           _ZL20rocblas_trmvn_kernelILi64ELi16ELb1ELb1EPKPK19rocblas_complex_numIfEPKPS1_S6_EviT3_lllT4_lllT5_li
    .private_segment_fixed_size: 0
    .sgpr_count:     26
    .sgpr_spill_count: 0
    .symbol:         _ZL20rocblas_trmvn_kernelILi64ELi16ELb1ELb1EPKPK19rocblas_complex_numIfEPKPS1_S6_EviT3_lllT4_lllT5_li.kd
    .uniform_work_group_size: 1
    .uses_dynamic_stack: false
    .vgpr_count:     28
    .vgpr_spill_count: 0
    .wavefront_size: 32
  - .args:
      - .offset:         0
        .size:           4
        .value_kind:     by_value
      - .address_space:  global
        .offset:         8
        .size:           8
        .value_kind:     global_buffer
      - .offset:         16
        .size:           8
        .value_kind:     by_value
      - .offset:         24
        .size:           8
        .value_kind:     by_value
      - .offset:         32
        .size:           8
        .value_kind:     by_value
      - .address_space:  global
        .offset:         40
        .size:           8
        .value_kind:     global_buffer
      - .offset:         48
        .size:           8
        .value_kind:     by_value
      - .offset:         56
        .size:           8
        .value_kind:     by_value
      - .offset:         64
        .size:           8
        .value_kind:     by_value
      - .address_space:  global
        .offset:         72
        .size:           8
        .value_kind:     global_buffer
      - .offset:         80
        .size:           8
        .value_kind:     by_value
      - .offset:         88
        .size:           4
        .value_kind:     by_value
    .group_segment_fixed_size: 256
    .kernarg_segment_align: 8
    .kernarg_segment_size: 92
    .language:       OpenCL C
    .language_version:
      - 2
      - 0
    .max_flat_workgroup_size: 512
    .name:           _ZL20rocblas_trmvt_kernelILi512ELb1ELb0ELb1EPKPK19rocblas_complex_numIfEPKPS1_S6_EviT3_lllT4_lllT5_li
    .private_segment_fixed_size: 0
    .sgpr_count:     34
    .sgpr_spill_count: 0
    .symbol:         _ZL20rocblas_trmvt_kernelILi512ELb1ELb0ELb1EPKPK19rocblas_complex_numIfEPKPS1_S6_EviT3_lllT4_lllT5_li.kd
    .uniform_work_group_size: 1
    .uses_dynamic_stack: false
    .vgpr_count:     30
    .vgpr_spill_count: 0
    .wavefront_size: 32
  - .args:
      - .offset:         0
        .size:           4
        .value_kind:     by_value
      - .address_space:  global
        .offset:         8
        .size:           8
        .value_kind:     global_buffer
      - .offset:         16
        .size:           8
        .value_kind:     by_value
      - .offset:         24
        .size:           8
        .value_kind:     by_value
      - .offset:         32
        .size:           8
        .value_kind:     by_value
      - .address_space:  global
        .offset:         40
        .size:           8
        .value_kind:     global_buffer
      - .offset:         48
        .size:           8
        .value_kind:     by_value
      - .offset:         56
        .size:           8
        .value_kind:     by_value
      - .offset:         64
        .size:           8
        .value_kind:     by_value
      - .address_space:  global
        .offset:         72
        .size:           8
        .value_kind:     global_buffer
      - .offset:         80
        .size:           8
        .value_kind:     by_value
      - .offset:         88
        .size:           4
        .value_kind:     by_value
    .group_segment_fixed_size: 256
    .kernarg_segment_align: 8
    .kernarg_segment_size: 92
    .language:       OpenCL C
    .language_version:
      - 2
      - 0
    .max_flat_workgroup_size: 512
    .name:           _ZL20rocblas_trmvt_kernelILi512ELb1ELb1ELb1EPKPK19rocblas_complex_numIfEPKPS1_S6_EviT3_lllT4_lllT5_li
    .private_segment_fixed_size: 0
    .sgpr_count:     30
    .sgpr_spill_count: 0
    .symbol:         _ZL20rocblas_trmvt_kernelILi512ELb1ELb1ELb1EPKPK19rocblas_complex_numIfEPKPS1_S6_EviT3_lllT4_lllT5_li.kd
    .uniform_work_group_size: 1
    .uses_dynamic_stack: false
    .vgpr_count:     30
    .vgpr_spill_count: 0
    .wavefront_size: 32
  - .args:
      - .offset:         0
        .size:           4
        .value_kind:     by_value
      - .address_space:  global
        .offset:         8
        .size:           8
        .value_kind:     global_buffer
      - .offset:         16
        .size:           8
        .value_kind:     by_value
      - .offset:         24
        .size:           8
        .value_kind:     by_value
      - .offset:         32
        .size:           8
        .value_kind:     by_value
      - .address_space:  global
        .offset:         40
        .size:           8
        .value_kind:     global_buffer
      - .offset:         48
        .size:           8
        .value_kind:     by_value
      - .offset:         56
        .size:           8
        .value_kind:     by_value
      - .offset:         64
        .size:           8
        .value_kind:     by_value
      - .address_space:  global
        .offset:         72
        .size:           8
        .value_kind:     global_buffer
      - .offset:         80
        .size:           8
        .value_kind:     by_value
      - .offset:         88
        .size:           4
        .value_kind:     by_value
      - .offset:         96
        .size:           4
        .value_kind:     hidden_block_count_x
      - .offset:         100
        .size:           4
        .value_kind:     hidden_block_count_y
      - .offset:         104
        .size:           4
        .value_kind:     hidden_block_count_z
      - .offset:         108
        .size:           2
        .value_kind:     hidden_group_size_x
      - .offset:         110
        .size:           2
        .value_kind:     hidden_group_size_y
      - .offset:         112
        .size:           2
        .value_kind:     hidden_group_size_z
      - .offset:         114
        .size:           2
        .value_kind:     hidden_remainder_x
      - .offset:         116
        .size:           2
        .value_kind:     hidden_remainder_y
      - .offset:         118
        .size:           2
        .value_kind:     hidden_remainder_z
      - .offset:         136
        .size:           8
        .value_kind:     hidden_global_offset_x
      - .offset:         144
        .size:           8
        .value_kind:     hidden_global_offset_y
      - .offset:         152
        .size:           8
        .value_kind:     hidden_global_offset_z
      - .offset:         160
        .size:           2
        .value_kind:     hidden_grid_dims
    .group_segment_fixed_size: 8192
    .kernarg_segment_align: 8
    .kernarg_segment_size: 352
    .language:       OpenCL C
    .language_version:
      - 2
      - 0
    .max_flat_workgroup_size: 1024
    .name:           _ZL20rocblas_trmvn_kernelILi64ELi16ELb1ELb0EPKPK19rocblas_complex_numIfEPKPS1_S6_EviT3_lllT4_lllT5_li
    .private_segment_fixed_size: 0
    .sgpr_count:     27
    .sgpr_spill_count: 0
    .symbol:         _ZL20rocblas_trmvn_kernelILi64ELi16ELb1ELb0EPKPK19rocblas_complex_numIfEPKPS1_S6_EviT3_lllT4_lllT5_li.kd
    .uniform_work_group_size: 1
    .uses_dynamic_stack: false
    .vgpr_count:     30
    .vgpr_spill_count: 0
    .wavefront_size: 32
  - .args:
      - .offset:         0
        .size:           4
        .value_kind:     by_value
      - .address_space:  global
        .offset:         8
        .size:           8
        .value_kind:     global_buffer
      - .offset:         16
        .size:           8
        .value_kind:     by_value
      - .offset:         24
        .size:           8
        .value_kind:     by_value
      - .offset:         32
        .size:           8
        .value_kind:     by_value
      - .address_space:  global
        .offset:         40
        .size:           8
        .value_kind:     global_buffer
      - .offset:         48
        .size:           8
        .value_kind:     by_value
      - .offset:         56
        .size:           8
        .value_kind:     by_value
      - .offset:         64
        .size:           8
        .value_kind:     by_value
      - .address_space:  global
        .offset:         72
        .size:           8
        .value_kind:     global_buffer
      - .offset:         80
        .size:           8
        .value_kind:     by_value
      - .offset:         88
        .size:           4
        .value_kind:     by_value
    .group_segment_fixed_size: 256
    .kernarg_segment_align: 8
    .kernarg_segment_size: 92
    .language:       OpenCL C
    .language_version:
      - 2
      - 0
    .max_flat_workgroup_size: 512
    .name:           _ZL20rocblas_trmvt_kernelILi512ELb1ELb0ELb0EPKPK19rocblas_complex_numIfEPKPS1_S6_EviT3_lllT4_lllT5_li
    .private_segment_fixed_size: 0
    .sgpr_count:     34
    .sgpr_spill_count: 0
    .symbol:         _ZL20rocblas_trmvt_kernelILi512ELb1ELb0ELb0EPKPK19rocblas_complex_numIfEPKPS1_S6_EviT3_lllT4_lllT5_li.kd
    .uniform_work_group_size: 1
    .uses_dynamic_stack: false
    .vgpr_count:     30
    .vgpr_spill_count: 0
    .wavefront_size: 32
  - .args:
      - .offset:         0
        .size:           4
        .value_kind:     by_value
      - .address_space:  global
        .offset:         8
        .size:           8
        .value_kind:     global_buffer
      - .offset:         16
        .size:           8
        .value_kind:     by_value
      - .offset:         24
        .size:           8
        .value_kind:     by_value
      - .offset:         32
        .size:           8
        .value_kind:     by_value
      - .address_space:  global
        .offset:         40
        .size:           8
        .value_kind:     global_buffer
      - .offset:         48
        .size:           8
        .value_kind:     by_value
      - .offset:         56
        .size:           8
        .value_kind:     by_value
      - .offset:         64
        .size:           8
        .value_kind:     by_value
      - .address_space:  global
        .offset:         72
        .size:           8
        .value_kind:     global_buffer
      - .offset:         80
        .size:           8
        .value_kind:     by_value
      - .offset:         88
        .size:           4
        .value_kind:     by_value
    .group_segment_fixed_size: 256
    .kernarg_segment_align: 8
    .kernarg_segment_size: 92
    .language:       OpenCL C
    .language_version:
      - 2
      - 0
    .max_flat_workgroup_size: 512
    .name:           _ZL20rocblas_trmvt_kernelILi512ELb1ELb1ELb0EPKPK19rocblas_complex_numIfEPKPS1_S6_EviT3_lllT4_lllT5_li
    .private_segment_fixed_size: 0
    .sgpr_count:     34
    .sgpr_spill_count: 0
    .symbol:         _ZL20rocblas_trmvt_kernelILi512ELb1ELb1ELb0EPKPK19rocblas_complex_numIfEPKPS1_S6_EviT3_lllT4_lllT5_li.kd
    .uniform_work_group_size: 1
    .uses_dynamic_stack: false
    .vgpr_count:     32
    .vgpr_spill_count: 0
    .wavefront_size: 32
  - .args:
      - .offset:         0
        .size:           4
        .value_kind:     by_value
      - .address_space:  global
        .offset:         8
        .size:           8
        .value_kind:     global_buffer
      - .offset:         16
        .size:           8
        .value_kind:     by_value
      - .offset:         24
        .size:           8
        .value_kind:     by_value
      - .offset:         32
        .size:           8
        .value_kind:     by_value
      - .address_space:  global
        .offset:         40
        .size:           8
        .value_kind:     global_buffer
      - .offset:         48
        .size:           8
        .value_kind:     by_value
      - .offset:         56
        .size:           8
        .value_kind:     by_value
      - .offset:         64
        .size:           8
        .value_kind:     by_value
      - .address_space:  global
        .offset:         72
        .size:           8
        .value_kind:     global_buffer
      - .offset:         80
        .size:           8
        .value_kind:     by_value
      - .offset:         88
        .size:           4
        .value_kind:     by_value
      - .offset:         96
        .size:           4
        .value_kind:     hidden_block_count_x
      - .offset:         100
        .size:           4
        .value_kind:     hidden_block_count_y
      - .offset:         104
        .size:           4
        .value_kind:     hidden_block_count_z
      - .offset:         108
        .size:           2
        .value_kind:     hidden_group_size_x
      - .offset:         110
        .size:           2
        .value_kind:     hidden_group_size_y
      - .offset:         112
        .size:           2
        .value_kind:     hidden_group_size_z
      - .offset:         114
        .size:           2
        .value_kind:     hidden_remainder_x
      - .offset:         116
        .size:           2
        .value_kind:     hidden_remainder_y
      - .offset:         118
        .size:           2
        .value_kind:     hidden_remainder_z
      - .offset:         136
        .size:           8
        .value_kind:     hidden_global_offset_x
      - .offset:         144
        .size:           8
        .value_kind:     hidden_global_offset_y
      - .offset:         152
        .size:           8
        .value_kind:     hidden_global_offset_z
      - .offset:         160
        .size:           2
        .value_kind:     hidden_grid_dims
    .group_segment_fixed_size: 16384
    .kernarg_segment_align: 8
    .kernarg_segment_size: 352
    .language:       OpenCL C
    .language_version:
      - 2
      - 0
    .max_flat_workgroup_size: 1024
    .name:           _ZL20rocblas_trmvn_kernelILi64ELi16ELb0ELb1EPKPK19rocblas_complex_numIdEPKPS1_S6_EviT3_lllT4_lllT5_li
    .private_segment_fixed_size: 0
    .sgpr_count:     26
    .sgpr_spill_count: 0
    .symbol:         _ZL20rocblas_trmvn_kernelILi64ELi16ELb0ELb1EPKPK19rocblas_complex_numIdEPKPS1_S6_EviT3_lllT4_lllT5_li.kd
    .uniform_work_group_size: 1
    .uses_dynamic_stack: false
    .vgpr_count:     32
    .vgpr_spill_count: 0
    .wavefront_size: 32
  - .args:
      - .offset:         0
        .size:           4
        .value_kind:     by_value
      - .address_space:  global
        .offset:         8
        .size:           8
        .value_kind:     global_buffer
      - .offset:         16
        .size:           8
        .value_kind:     by_value
      - .offset:         24
        .size:           8
        .value_kind:     by_value
      - .offset:         32
        .size:           8
        .value_kind:     by_value
      - .address_space:  global
        .offset:         40
        .size:           8
        .value_kind:     global_buffer
      - .offset:         48
        .size:           8
        .value_kind:     by_value
      - .offset:         56
        .size:           8
        .value_kind:     by_value
      - .offset:         64
        .size:           8
        .value_kind:     by_value
      - .address_space:  global
        .offset:         72
        .size:           8
        .value_kind:     global_buffer
      - .offset:         80
        .size:           8
        .value_kind:     by_value
      - .offset:         88
        .size:           4
        .value_kind:     by_value
    .group_segment_fixed_size: 512
    .kernarg_segment_align: 8
    .kernarg_segment_size: 92
    .language:       OpenCL C
    .language_version:
      - 2
      - 0
    .max_flat_workgroup_size: 512
    .name:           _ZL20rocblas_trmvt_kernelILi512ELb0ELb0ELb1EPKPK19rocblas_complex_numIdEPKPS1_S6_EviT3_lllT4_lllT5_li
    .private_segment_fixed_size: 0
    .sgpr_count:     30
    .sgpr_spill_count: 0
    .symbol:         _ZL20rocblas_trmvt_kernelILi512ELb0ELb0ELb1EPKPK19rocblas_complex_numIdEPKPS1_S6_EviT3_lllT4_lllT5_li.kd
    .uniform_work_group_size: 1
    .uses_dynamic_stack: false
    .vgpr_count:     32
    .vgpr_spill_count: 0
    .wavefront_size: 32
  - .args:
      - .offset:         0
        .size:           4
        .value_kind:     by_value
      - .address_space:  global
        .offset:         8
        .size:           8
        .value_kind:     global_buffer
      - .offset:         16
        .size:           8
        .value_kind:     by_value
      - .offset:         24
        .size:           8
        .value_kind:     by_value
      - .offset:         32
        .size:           8
        .value_kind:     by_value
      - .address_space:  global
        .offset:         40
        .size:           8
        .value_kind:     global_buffer
      - .offset:         48
        .size:           8
        .value_kind:     by_value
      - .offset:         56
        .size:           8
        .value_kind:     by_value
      - .offset:         64
        .size:           8
        .value_kind:     by_value
      - .address_space:  global
        .offset:         72
        .size:           8
        .value_kind:     global_buffer
      - .offset:         80
        .size:           8
        .value_kind:     by_value
      - .offset:         88
        .size:           4
        .value_kind:     by_value
    .group_segment_fixed_size: 512
    .kernarg_segment_align: 8
    .kernarg_segment_size: 92
    .language:       OpenCL C
    .language_version:
      - 2
      - 0
    .max_flat_workgroup_size: 512
    .name:           _ZL20rocblas_trmvt_kernelILi512ELb0ELb1ELb1EPKPK19rocblas_complex_numIdEPKPS1_S6_EviT3_lllT4_lllT5_li
    .private_segment_fixed_size: 0
    .sgpr_count:     30
    .sgpr_spill_count: 0
    .symbol:         _ZL20rocblas_trmvt_kernelILi512ELb0ELb1ELb1EPKPK19rocblas_complex_numIdEPKPS1_S6_EviT3_lllT4_lllT5_li.kd
    .uniform_work_group_size: 1
    .uses_dynamic_stack: false
    .vgpr_count:     32
    .vgpr_spill_count: 0
    .wavefront_size: 32
  - .args:
      - .offset:         0
        .size:           4
        .value_kind:     by_value
      - .address_space:  global
        .offset:         8
        .size:           8
        .value_kind:     global_buffer
      - .offset:         16
        .size:           8
        .value_kind:     by_value
      - .offset:         24
        .size:           8
        .value_kind:     by_value
      - .offset:         32
        .size:           8
        .value_kind:     by_value
      - .address_space:  global
        .offset:         40
        .size:           8
        .value_kind:     global_buffer
      - .offset:         48
        .size:           8
        .value_kind:     by_value
      - .offset:         56
        .size:           8
        .value_kind:     by_value
      - .offset:         64
        .size:           8
        .value_kind:     by_value
      - .address_space:  global
        .offset:         72
        .size:           8
        .value_kind:     global_buffer
      - .offset:         80
        .size:           8
        .value_kind:     by_value
      - .offset:         88
        .size:           4
        .value_kind:     by_value
      - .offset:         96
        .size:           4
        .value_kind:     hidden_block_count_x
      - .offset:         100
        .size:           4
        .value_kind:     hidden_block_count_y
      - .offset:         104
        .size:           4
        .value_kind:     hidden_block_count_z
      - .offset:         108
        .size:           2
        .value_kind:     hidden_group_size_x
      - .offset:         110
        .size:           2
        .value_kind:     hidden_group_size_y
      - .offset:         112
        .size:           2
        .value_kind:     hidden_group_size_z
      - .offset:         114
        .size:           2
        .value_kind:     hidden_remainder_x
      - .offset:         116
        .size:           2
        .value_kind:     hidden_remainder_y
      - .offset:         118
        .size:           2
        .value_kind:     hidden_remainder_z
      - .offset:         136
        .size:           8
        .value_kind:     hidden_global_offset_x
      - .offset:         144
        .size:           8
        .value_kind:     hidden_global_offset_y
      - .offset:         152
        .size:           8
        .value_kind:     hidden_global_offset_z
      - .offset:         160
        .size:           2
        .value_kind:     hidden_grid_dims
    .group_segment_fixed_size: 16384
    .kernarg_segment_align: 8
    .kernarg_segment_size: 352
    .language:       OpenCL C
    .language_version:
      - 2
      - 0
    .max_flat_workgroup_size: 1024
    .name:           _ZL20rocblas_trmvn_kernelILi64ELi16ELb0ELb0EPKPK19rocblas_complex_numIdEPKPS1_S6_EviT3_lllT4_lllT5_li
    .private_segment_fixed_size: 0
    .sgpr_count:     27
    .sgpr_spill_count: 0
    .symbol:         _ZL20rocblas_trmvn_kernelILi64ELi16ELb0ELb0EPKPK19rocblas_complex_numIdEPKPS1_S6_EviT3_lllT4_lllT5_li.kd
    .uniform_work_group_size: 1
    .uses_dynamic_stack: false
    .vgpr_count:     34
    .vgpr_spill_count: 0
    .wavefront_size: 32
  - .args:
      - .offset:         0
        .size:           4
        .value_kind:     by_value
      - .address_space:  global
        .offset:         8
        .size:           8
        .value_kind:     global_buffer
      - .offset:         16
        .size:           8
        .value_kind:     by_value
      - .offset:         24
        .size:           8
        .value_kind:     by_value
      - .offset:         32
        .size:           8
        .value_kind:     by_value
      - .address_space:  global
        .offset:         40
        .size:           8
        .value_kind:     global_buffer
      - .offset:         48
        .size:           8
        .value_kind:     by_value
      - .offset:         56
        .size:           8
        .value_kind:     by_value
      - .offset:         64
        .size:           8
        .value_kind:     by_value
      - .address_space:  global
        .offset:         72
        .size:           8
        .value_kind:     global_buffer
      - .offset:         80
        .size:           8
        .value_kind:     by_value
      - .offset:         88
        .size:           4
        .value_kind:     by_value
    .group_segment_fixed_size: 512
    .kernarg_segment_align: 8
    .kernarg_segment_size: 92
    .language:       OpenCL C
    .language_version:
      - 2
      - 0
    .max_flat_workgroup_size: 512
    .name:           _ZL20rocblas_trmvt_kernelILi512ELb0ELb0ELb0EPKPK19rocblas_complex_numIdEPKPS1_S6_EviT3_lllT4_lllT5_li
    .private_segment_fixed_size: 0
    .sgpr_count:     34
    .sgpr_spill_count: 0
    .symbol:         _ZL20rocblas_trmvt_kernelILi512ELb0ELb0ELb0EPKPK19rocblas_complex_numIdEPKPS1_S6_EviT3_lllT4_lllT5_li.kd
    .uniform_work_group_size: 1
    .uses_dynamic_stack: false
    .vgpr_count:     34
    .vgpr_spill_count: 0
    .wavefront_size: 32
  - .args:
      - .offset:         0
        .size:           4
        .value_kind:     by_value
      - .address_space:  global
        .offset:         8
        .size:           8
        .value_kind:     global_buffer
      - .offset:         16
        .size:           8
        .value_kind:     by_value
      - .offset:         24
        .size:           8
        .value_kind:     by_value
      - .offset:         32
        .size:           8
        .value_kind:     by_value
      - .address_space:  global
        .offset:         40
        .size:           8
        .value_kind:     global_buffer
      - .offset:         48
        .size:           8
        .value_kind:     by_value
      - .offset:         56
        .size:           8
        .value_kind:     by_value
      - .offset:         64
        .size:           8
        .value_kind:     by_value
      - .address_space:  global
        .offset:         72
        .size:           8
        .value_kind:     global_buffer
      - .offset:         80
        .size:           8
        .value_kind:     by_value
      - .offset:         88
        .size:           4
        .value_kind:     by_value
    .group_segment_fixed_size: 512
    .kernarg_segment_align: 8
    .kernarg_segment_size: 92
    .language:       OpenCL C
    .language_version:
      - 2
      - 0
    .max_flat_workgroup_size: 512
    .name:           _ZL20rocblas_trmvt_kernelILi512ELb0ELb1ELb0EPKPK19rocblas_complex_numIdEPKPS1_S6_EviT3_lllT4_lllT5_li
    .private_segment_fixed_size: 0
    .sgpr_count:     34
    .sgpr_spill_count: 0
    .symbol:         _ZL20rocblas_trmvt_kernelILi512ELb0ELb1ELb0EPKPK19rocblas_complex_numIdEPKPS1_S6_EviT3_lllT4_lllT5_li.kd
    .uniform_work_group_size: 1
    .uses_dynamic_stack: false
    .vgpr_count:     34
    .vgpr_spill_count: 0
    .wavefront_size: 32
  - .args:
      - .offset:         0
        .size:           4
        .value_kind:     by_value
      - .address_space:  global
        .offset:         8
        .size:           8
        .value_kind:     global_buffer
      - .offset:         16
        .size:           8
        .value_kind:     by_value
      - .offset:         24
        .size:           8
        .value_kind:     by_value
      - .offset:         32
        .size:           8
        .value_kind:     by_value
      - .address_space:  global
        .offset:         40
        .size:           8
        .value_kind:     global_buffer
      - .offset:         48
        .size:           8
        .value_kind:     by_value
      - .offset:         56
        .size:           8
        .value_kind:     by_value
      - .offset:         64
        .size:           8
        .value_kind:     by_value
      - .address_space:  global
        .offset:         72
        .size:           8
        .value_kind:     global_buffer
      - .offset:         80
        .size:           8
        .value_kind:     by_value
      - .offset:         88
        .size:           4
        .value_kind:     by_value
      - .offset:         96
        .size:           4
        .value_kind:     hidden_block_count_x
      - .offset:         100
        .size:           4
        .value_kind:     hidden_block_count_y
      - .offset:         104
        .size:           4
        .value_kind:     hidden_block_count_z
      - .offset:         108
        .size:           2
        .value_kind:     hidden_group_size_x
      - .offset:         110
        .size:           2
        .value_kind:     hidden_group_size_y
      - .offset:         112
        .size:           2
        .value_kind:     hidden_group_size_z
      - .offset:         114
        .size:           2
        .value_kind:     hidden_remainder_x
      - .offset:         116
        .size:           2
        .value_kind:     hidden_remainder_y
      - .offset:         118
        .size:           2
        .value_kind:     hidden_remainder_z
      - .offset:         136
        .size:           8
        .value_kind:     hidden_global_offset_x
      - .offset:         144
        .size:           8
        .value_kind:     hidden_global_offset_y
      - .offset:         152
        .size:           8
        .value_kind:     hidden_global_offset_z
      - .offset:         160
        .size:           2
        .value_kind:     hidden_grid_dims
    .group_segment_fixed_size: 16384
    .kernarg_segment_align: 8
    .kernarg_segment_size: 352
    .language:       OpenCL C
    .language_version:
      - 2
      - 0
    .max_flat_workgroup_size: 1024
    .name:           _ZL20rocblas_trmvn_kernelILi64ELi16ELb1ELb1EPKPK19rocblas_complex_numIdEPKPS1_S6_EviT3_lllT4_lllT5_li
    .private_segment_fixed_size: 0
    .sgpr_count:     26
    .sgpr_spill_count: 0
    .symbol:         _ZL20rocblas_trmvn_kernelILi64ELi16ELb1ELb1EPKPK19rocblas_complex_numIdEPKPS1_S6_EviT3_lllT4_lllT5_li.kd
    .uniform_work_group_size: 1
    .uses_dynamic_stack: false
    .vgpr_count:     32
    .vgpr_spill_count: 0
    .wavefront_size: 32
  - .args:
      - .offset:         0
        .size:           4
        .value_kind:     by_value
      - .address_space:  global
        .offset:         8
        .size:           8
        .value_kind:     global_buffer
      - .offset:         16
        .size:           8
        .value_kind:     by_value
      - .offset:         24
        .size:           8
        .value_kind:     by_value
      - .offset:         32
        .size:           8
        .value_kind:     by_value
      - .address_space:  global
        .offset:         40
        .size:           8
        .value_kind:     global_buffer
      - .offset:         48
        .size:           8
        .value_kind:     by_value
      - .offset:         56
        .size:           8
        .value_kind:     by_value
      - .offset:         64
        .size:           8
        .value_kind:     by_value
      - .address_space:  global
        .offset:         72
        .size:           8
        .value_kind:     global_buffer
      - .offset:         80
        .size:           8
        .value_kind:     by_value
      - .offset:         88
        .size:           4
        .value_kind:     by_value
    .group_segment_fixed_size: 512
    .kernarg_segment_align: 8
    .kernarg_segment_size: 92
    .language:       OpenCL C
    .language_version:
      - 2
      - 0
    .max_flat_workgroup_size: 512
    .name:           _ZL20rocblas_trmvt_kernelILi512ELb1ELb0ELb1EPKPK19rocblas_complex_numIdEPKPS1_S6_EviT3_lllT4_lllT5_li
    .private_segment_fixed_size: 0
    .sgpr_count:     30
    .sgpr_spill_count: 0
    .symbol:         _ZL20rocblas_trmvt_kernelILi512ELb1ELb0ELb1EPKPK19rocblas_complex_numIdEPKPS1_S6_EviT3_lllT4_lllT5_li.kd
    .uniform_work_group_size: 1
    .uses_dynamic_stack: false
    .vgpr_count:     32
    .vgpr_spill_count: 0
    .wavefront_size: 32
  - .args:
      - .offset:         0
        .size:           4
        .value_kind:     by_value
      - .address_space:  global
        .offset:         8
        .size:           8
        .value_kind:     global_buffer
      - .offset:         16
        .size:           8
        .value_kind:     by_value
      - .offset:         24
        .size:           8
        .value_kind:     by_value
      - .offset:         32
        .size:           8
        .value_kind:     by_value
      - .address_space:  global
        .offset:         40
        .size:           8
        .value_kind:     global_buffer
      - .offset:         48
        .size:           8
        .value_kind:     by_value
      - .offset:         56
        .size:           8
        .value_kind:     by_value
      - .offset:         64
        .size:           8
        .value_kind:     by_value
      - .address_space:  global
        .offset:         72
        .size:           8
        .value_kind:     global_buffer
      - .offset:         80
        .size:           8
        .value_kind:     by_value
      - .offset:         88
        .size:           4
        .value_kind:     by_value
    .group_segment_fixed_size: 512
    .kernarg_segment_align: 8
    .kernarg_segment_size: 92
    .language:       OpenCL C
    .language_version:
      - 2
      - 0
    .max_flat_workgroup_size: 512
    .name:           _ZL20rocblas_trmvt_kernelILi512ELb1ELb1ELb1EPKPK19rocblas_complex_numIdEPKPS1_S6_EviT3_lllT4_lllT5_li
    .private_segment_fixed_size: 0
    .sgpr_count:     30
    .sgpr_spill_count: 0
    .symbol:         _ZL20rocblas_trmvt_kernelILi512ELb1ELb1ELb1EPKPK19rocblas_complex_numIdEPKPS1_S6_EviT3_lllT4_lllT5_li.kd
    .uniform_work_group_size: 1
    .uses_dynamic_stack: false
    .vgpr_count:     32
    .vgpr_spill_count: 0
    .wavefront_size: 32
  - .args:
      - .offset:         0
        .size:           4
        .value_kind:     by_value
      - .address_space:  global
        .offset:         8
        .size:           8
        .value_kind:     global_buffer
      - .offset:         16
        .size:           8
        .value_kind:     by_value
      - .offset:         24
        .size:           8
        .value_kind:     by_value
      - .offset:         32
        .size:           8
        .value_kind:     by_value
      - .address_space:  global
        .offset:         40
        .size:           8
        .value_kind:     global_buffer
      - .offset:         48
        .size:           8
        .value_kind:     by_value
      - .offset:         56
        .size:           8
        .value_kind:     by_value
      - .offset:         64
        .size:           8
        .value_kind:     by_value
      - .address_space:  global
        .offset:         72
        .size:           8
        .value_kind:     global_buffer
      - .offset:         80
        .size:           8
        .value_kind:     by_value
      - .offset:         88
        .size:           4
        .value_kind:     by_value
      - .offset:         96
        .size:           4
        .value_kind:     hidden_block_count_x
      - .offset:         100
        .size:           4
        .value_kind:     hidden_block_count_y
      - .offset:         104
        .size:           4
        .value_kind:     hidden_block_count_z
      - .offset:         108
        .size:           2
        .value_kind:     hidden_group_size_x
      - .offset:         110
        .size:           2
        .value_kind:     hidden_group_size_y
      - .offset:         112
        .size:           2
        .value_kind:     hidden_group_size_z
      - .offset:         114
        .size:           2
        .value_kind:     hidden_remainder_x
      - .offset:         116
        .size:           2
        .value_kind:     hidden_remainder_y
      - .offset:         118
        .size:           2
        .value_kind:     hidden_remainder_z
      - .offset:         136
        .size:           8
        .value_kind:     hidden_global_offset_x
      - .offset:         144
        .size:           8
        .value_kind:     hidden_global_offset_y
      - .offset:         152
        .size:           8
        .value_kind:     hidden_global_offset_z
      - .offset:         160
        .size:           2
        .value_kind:     hidden_grid_dims
    .group_segment_fixed_size: 16384
    .kernarg_segment_align: 8
    .kernarg_segment_size: 352
    .language:       OpenCL C
    .language_version:
      - 2
      - 0
    .max_flat_workgroup_size: 1024
    .name:           _ZL20rocblas_trmvn_kernelILi64ELi16ELb1ELb0EPKPK19rocblas_complex_numIdEPKPS1_S6_EviT3_lllT4_lllT5_li
    .private_segment_fixed_size: 0
    .sgpr_count:     27
    .sgpr_spill_count: 0
    .symbol:         _ZL20rocblas_trmvn_kernelILi64ELi16ELb1ELb0EPKPK19rocblas_complex_numIdEPKPS1_S6_EviT3_lllT4_lllT5_li.kd
    .uniform_work_group_size: 1
    .uses_dynamic_stack: false
    .vgpr_count:     34
    .vgpr_spill_count: 0
    .wavefront_size: 32
  - .args:
      - .offset:         0
        .size:           4
        .value_kind:     by_value
      - .address_space:  global
        .offset:         8
        .size:           8
        .value_kind:     global_buffer
      - .offset:         16
        .size:           8
        .value_kind:     by_value
      - .offset:         24
        .size:           8
        .value_kind:     by_value
      - .offset:         32
        .size:           8
        .value_kind:     by_value
      - .address_space:  global
        .offset:         40
        .size:           8
        .value_kind:     global_buffer
      - .offset:         48
        .size:           8
        .value_kind:     by_value
      - .offset:         56
        .size:           8
        .value_kind:     by_value
      - .offset:         64
        .size:           8
        .value_kind:     by_value
      - .address_space:  global
        .offset:         72
        .size:           8
        .value_kind:     global_buffer
      - .offset:         80
        .size:           8
        .value_kind:     by_value
      - .offset:         88
        .size:           4
        .value_kind:     by_value
    .group_segment_fixed_size: 512
    .kernarg_segment_align: 8
    .kernarg_segment_size: 92
    .language:       OpenCL C
    .language_version:
      - 2
      - 0
    .max_flat_workgroup_size: 512
    .name:           _ZL20rocblas_trmvt_kernelILi512ELb1ELb0ELb0EPKPK19rocblas_complex_numIdEPKPS1_S6_EviT3_lllT4_lllT5_li
    .private_segment_fixed_size: 0
    .sgpr_count:     34
    .sgpr_spill_count: 0
    .symbol:         _ZL20rocblas_trmvt_kernelILi512ELb1ELb0ELb0EPKPK19rocblas_complex_numIdEPKPS1_S6_EviT3_lllT4_lllT5_li.kd
    .uniform_work_group_size: 1
    .uses_dynamic_stack: false
    .vgpr_count:     34
    .vgpr_spill_count: 0
    .wavefront_size: 32
  - .args:
      - .offset:         0
        .size:           4
        .value_kind:     by_value
      - .address_space:  global
        .offset:         8
        .size:           8
        .value_kind:     global_buffer
      - .offset:         16
        .size:           8
        .value_kind:     by_value
      - .offset:         24
        .size:           8
        .value_kind:     by_value
      - .offset:         32
        .size:           8
        .value_kind:     by_value
      - .address_space:  global
        .offset:         40
        .size:           8
        .value_kind:     global_buffer
      - .offset:         48
        .size:           8
        .value_kind:     by_value
      - .offset:         56
        .size:           8
        .value_kind:     by_value
      - .offset:         64
        .size:           8
        .value_kind:     by_value
      - .address_space:  global
        .offset:         72
        .size:           8
        .value_kind:     global_buffer
      - .offset:         80
        .size:           8
        .value_kind:     by_value
      - .offset:         88
        .size:           4
        .value_kind:     by_value
    .group_segment_fixed_size: 512
    .kernarg_segment_align: 8
    .kernarg_segment_size: 92
    .language:       OpenCL C
    .language_version:
      - 2
      - 0
    .max_flat_workgroup_size: 512
    .name:           _ZL20rocblas_trmvt_kernelILi512ELb1ELb1ELb0EPKPK19rocblas_complex_numIdEPKPS1_S6_EviT3_lllT4_lllT5_li
    .private_segment_fixed_size: 0
    .sgpr_count:     34
    .sgpr_spill_count: 0
    .symbol:         _ZL20rocblas_trmvt_kernelILi512ELb1ELb1ELb0EPKPK19rocblas_complex_numIdEPKPS1_S6_EviT3_lllT4_lllT5_li.kd
    .uniform_work_group_size: 1
    .uses_dynamic_stack: false
    .vgpr_count:     34
    .vgpr_spill_count: 0
    .wavefront_size: 32
amdhsa.target:   amdgcn-amd-amdhsa--gfx1250
amdhsa.version:
  - 1
  - 2
...

	.end_amdgpu_metadata
